;; amdgpu-corpus repo=ROCm/rocFFT kind=compiled arch=gfx1030 opt=O3
	.text
	.amdgcn_target "amdgcn-amd-amdhsa--gfx1030"
	.amdhsa_code_object_version 6
	.protected	fft_rtc_fwd_len1071_factors_17_7_9_wgs_119_tpt_119_halfLds_half_ip_CI_sbrr_dirReg ; -- Begin function fft_rtc_fwd_len1071_factors_17_7_9_wgs_119_tpt_119_halfLds_half_ip_CI_sbrr_dirReg
	.globl	fft_rtc_fwd_len1071_factors_17_7_9_wgs_119_tpt_119_halfLds_half_ip_CI_sbrr_dirReg
	.p2align	8
	.type	fft_rtc_fwd_len1071_factors_17_7_9_wgs_119_tpt_119_halfLds_half_ip_CI_sbrr_dirReg,@function
fft_rtc_fwd_len1071_factors_17_7_9_wgs_119_tpt_119_halfLds_half_ip_CI_sbrr_dirReg: ; @fft_rtc_fwd_len1071_factors_17_7_9_wgs_119_tpt_119_halfLds_half_ip_CI_sbrr_dirReg
; %bb.0:
	s_clause 0x2
	s_load_dwordx2 s[14:15], s[4:5], 0x18
	s_load_dwordx4 s[8:11], s[4:5], 0x0
	s_load_dwordx2 s[12:13], s[4:5], 0x50
	v_mul_u32_u24_e32 v1, 0x227, v0
	v_mov_b32_e32 v3, 0
	v_add_nc_u32_sdwa v5, s6, v1 dst_sel:DWORD dst_unused:UNUSED_PAD src0_sel:DWORD src1_sel:WORD_1
	v_mov_b32_e32 v1, 0
	v_mov_b32_e32 v6, v3
	v_mov_b32_e32 v2, 0
	s_waitcnt lgkmcnt(0)
	s_load_dwordx2 s[2:3], s[14:15], 0x0
	v_cmp_lt_u64_e64 s0, s[10:11], 2
	s_and_b32 vcc_lo, exec_lo, s0
	s_cbranch_vccnz .LBB0_8
; %bb.1:
	s_load_dwordx2 s[0:1], s[4:5], 0x10
	v_mov_b32_e32 v1, 0
	s_add_u32 s6, s14, 8
	v_mov_b32_e32 v2, 0
	s_addc_u32 s7, s15, 0
	s_mov_b64 s[18:19], 1
	s_waitcnt lgkmcnt(0)
	s_add_u32 s16, s0, 8
	s_addc_u32 s17, s1, 0
.LBB0_2:                                ; =>This Inner Loop Header: Depth=1
	s_load_dwordx2 s[20:21], s[16:17], 0x0
                                        ; implicit-def: $vgpr10_vgpr11
	s_mov_b32 s0, exec_lo
	s_waitcnt lgkmcnt(0)
	v_or_b32_e32 v4, s21, v6
	v_cmpx_ne_u64_e32 0, v[3:4]
	s_xor_b32 s1, exec_lo, s0
	s_cbranch_execz .LBB0_4
; %bb.3:                                ;   in Loop: Header=BB0_2 Depth=1
	v_cvt_f32_u32_e32 v4, s20
	v_cvt_f32_u32_e32 v7, s21
	s_sub_u32 s0, 0, s20
	s_subb_u32 s22, 0, s21
	v_fmac_f32_e32 v4, 0x4f800000, v7
	v_rcp_f32_e32 v4, v4
	v_mul_f32_e32 v4, 0x5f7ffffc, v4
	v_mul_f32_e32 v7, 0x2f800000, v4
	v_trunc_f32_e32 v7, v7
	v_fmac_f32_e32 v4, 0xcf800000, v7
	v_cvt_u32_f32_e32 v7, v7
	v_cvt_u32_f32_e32 v4, v4
	v_mul_lo_u32 v8, s0, v7
	v_mul_hi_u32 v9, s0, v4
	v_mul_lo_u32 v10, s22, v4
	v_add_nc_u32_e32 v8, v9, v8
	v_mul_lo_u32 v9, s0, v4
	v_add_nc_u32_e32 v8, v8, v10
	v_mul_hi_u32 v10, v4, v9
	v_mul_lo_u32 v11, v4, v8
	v_mul_hi_u32 v12, v4, v8
	v_mul_hi_u32 v13, v7, v9
	v_mul_lo_u32 v9, v7, v9
	v_mul_hi_u32 v14, v7, v8
	v_mul_lo_u32 v8, v7, v8
	v_add_co_u32 v10, vcc_lo, v10, v11
	v_add_co_ci_u32_e32 v11, vcc_lo, 0, v12, vcc_lo
	v_add_co_u32 v9, vcc_lo, v10, v9
	v_add_co_ci_u32_e32 v9, vcc_lo, v11, v13, vcc_lo
	v_add_co_ci_u32_e32 v10, vcc_lo, 0, v14, vcc_lo
	v_add_co_u32 v8, vcc_lo, v9, v8
	v_add_co_ci_u32_e32 v9, vcc_lo, 0, v10, vcc_lo
	v_add_co_u32 v4, vcc_lo, v4, v8
	v_add_co_ci_u32_e32 v7, vcc_lo, v7, v9, vcc_lo
	v_mul_hi_u32 v8, s0, v4
	v_mul_lo_u32 v10, s22, v4
	v_mul_lo_u32 v9, s0, v7
	v_add_nc_u32_e32 v8, v8, v9
	v_mul_lo_u32 v9, s0, v4
	v_add_nc_u32_e32 v8, v8, v10
	v_mul_hi_u32 v10, v4, v9
	v_mul_lo_u32 v11, v4, v8
	v_mul_hi_u32 v12, v4, v8
	v_mul_hi_u32 v13, v7, v9
	v_mul_lo_u32 v9, v7, v9
	v_mul_hi_u32 v14, v7, v8
	v_mul_lo_u32 v8, v7, v8
	v_add_co_u32 v10, vcc_lo, v10, v11
	v_add_co_ci_u32_e32 v11, vcc_lo, 0, v12, vcc_lo
	v_add_co_u32 v9, vcc_lo, v10, v9
	v_add_co_ci_u32_e32 v9, vcc_lo, v11, v13, vcc_lo
	v_add_co_ci_u32_e32 v10, vcc_lo, 0, v14, vcc_lo
	v_add_co_u32 v8, vcc_lo, v9, v8
	v_add_co_ci_u32_e32 v9, vcc_lo, 0, v10, vcc_lo
	v_add_co_u32 v4, vcc_lo, v4, v8
	v_add_co_ci_u32_e32 v11, vcc_lo, v7, v9, vcc_lo
	v_mul_hi_u32 v13, v5, v4
	v_mad_u64_u32 v[9:10], null, v6, v4, 0
	v_mad_u64_u32 v[7:8], null, v5, v11, 0
	;; [unrolled: 1-line block ×3, first 2 shown]
	v_add_co_u32 v4, vcc_lo, v13, v7
	v_add_co_ci_u32_e32 v7, vcc_lo, 0, v8, vcc_lo
	v_add_co_u32 v4, vcc_lo, v4, v9
	v_add_co_ci_u32_e32 v4, vcc_lo, v7, v10, vcc_lo
	v_add_co_ci_u32_e32 v7, vcc_lo, 0, v12, vcc_lo
	v_add_co_u32 v4, vcc_lo, v4, v11
	v_add_co_ci_u32_e32 v9, vcc_lo, 0, v7, vcc_lo
	v_mul_lo_u32 v10, s21, v4
	v_mad_u64_u32 v[7:8], null, s20, v4, 0
	v_mul_lo_u32 v11, s20, v9
	v_sub_co_u32 v7, vcc_lo, v5, v7
	v_add3_u32 v8, v8, v11, v10
	v_sub_nc_u32_e32 v10, v6, v8
	v_subrev_co_ci_u32_e64 v10, s0, s21, v10, vcc_lo
	v_add_co_u32 v11, s0, v4, 2
	v_add_co_ci_u32_e64 v12, s0, 0, v9, s0
	v_sub_co_u32 v13, s0, v7, s20
	v_sub_co_ci_u32_e32 v8, vcc_lo, v6, v8, vcc_lo
	v_subrev_co_ci_u32_e64 v10, s0, 0, v10, s0
	v_cmp_le_u32_e32 vcc_lo, s20, v13
	v_cmp_eq_u32_e64 s0, s21, v8
	v_cndmask_b32_e64 v13, 0, -1, vcc_lo
	v_cmp_le_u32_e32 vcc_lo, s21, v10
	v_cndmask_b32_e64 v14, 0, -1, vcc_lo
	v_cmp_le_u32_e32 vcc_lo, s20, v7
	;; [unrolled: 2-line block ×3, first 2 shown]
	v_cndmask_b32_e64 v15, 0, -1, vcc_lo
	v_cmp_eq_u32_e32 vcc_lo, s21, v10
	v_cndmask_b32_e64 v7, v15, v7, s0
	v_cndmask_b32_e32 v10, v14, v13, vcc_lo
	v_add_co_u32 v13, vcc_lo, v4, 1
	v_add_co_ci_u32_e32 v14, vcc_lo, 0, v9, vcc_lo
	v_cmp_ne_u32_e32 vcc_lo, 0, v10
	v_cndmask_b32_e32 v8, v14, v12, vcc_lo
	v_cndmask_b32_e32 v10, v13, v11, vcc_lo
	v_cmp_ne_u32_e32 vcc_lo, 0, v7
	v_cndmask_b32_e32 v11, v9, v8, vcc_lo
	v_cndmask_b32_e32 v10, v4, v10, vcc_lo
.LBB0_4:                                ;   in Loop: Header=BB0_2 Depth=1
	s_andn2_saveexec_b32 s0, s1
	s_cbranch_execz .LBB0_6
; %bb.5:                                ;   in Loop: Header=BB0_2 Depth=1
	v_cvt_f32_u32_e32 v4, s20
	s_sub_i32 s1, 0, s20
	v_mov_b32_e32 v11, v3
	v_rcp_iflag_f32_e32 v4, v4
	v_mul_f32_e32 v4, 0x4f7ffffe, v4
	v_cvt_u32_f32_e32 v4, v4
	v_mul_lo_u32 v7, s1, v4
	v_mul_hi_u32 v7, v4, v7
	v_add_nc_u32_e32 v4, v4, v7
	v_mul_hi_u32 v4, v5, v4
	v_mul_lo_u32 v7, v4, s20
	v_add_nc_u32_e32 v8, 1, v4
	v_sub_nc_u32_e32 v7, v5, v7
	v_subrev_nc_u32_e32 v9, s20, v7
	v_cmp_le_u32_e32 vcc_lo, s20, v7
	v_cndmask_b32_e32 v7, v7, v9, vcc_lo
	v_cndmask_b32_e32 v4, v4, v8, vcc_lo
	v_cmp_le_u32_e32 vcc_lo, s20, v7
	v_add_nc_u32_e32 v8, 1, v4
	v_cndmask_b32_e32 v10, v4, v8, vcc_lo
.LBB0_6:                                ;   in Loop: Header=BB0_2 Depth=1
	s_or_b32 exec_lo, exec_lo, s0
	s_load_dwordx2 s[0:1], s[6:7], 0x0
	v_mul_lo_u32 v4, v11, s20
	v_mul_lo_u32 v9, v10, s21
	v_mad_u64_u32 v[7:8], null, v10, s20, 0
	s_add_u32 s18, s18, 1
	s_addc_u32 s19, s19, 0
	s_add_u32 s6, s6, 8
	s_addc_u32 s7, s7, 0
	;; [unrolled: 2-line block ×3, first 2 shown]
	v_add3_u32 v4, v8, v9, v4
	v_sub_co_u32 v5, vcc_lo, v5, v7
	v_sub_co_ci_u32_e32 v4, vcc_lo, v6, v4, vcc_lo
	s_waitcnt lgkmcnt(0)
	v_mul_lo_u32 v6, s1, v5
	v_mul_lo_u32 v4, s0, v4
	v_mad_u64_u32 v[1:2], null, s0, v5, v[1:2]
	v_cmp_ge_u64_e64 s0, s[18:19], s[10:11]
	s_and_b32 vcc_lo, exec_lo, s0
	v_add3_u32 v2, v6, v2, v4
	s_cbranch_vccnz .LBB0_9
; %bb.7:                                ;   in Loop: Header=BB0_2 Depth=1
	v_mov_b32_e32 v5, v10
	v_mov_b32_e32 v6, v11
	s_branch .LBB0_2
.LBB0_8:
	v_mov_b32_e32 v11, v6
	v_mov_b32_e32 v10, v5
.LBB0_9:
	s_lshl_b64 s[0:1], s[10:11], 3
	v_mul_hi_u32 v3, 0x226b903, v0
	s_add_u32 s0, s14, s0
	s_addc_u32 s1, s15, s1
	v_mov_b32_e32 v4, 0
	s_load_dwordx2 s[0:1], s[0:1], 0x0
	s_load_dwordx2 s[4:5], s[4:5], 0x20
	v_mov_b32_e32 v13, 0
                                        ; implicit-def: $vgpr28
                                        ; implicit-def: $vgpr34
                                        ; implicit-def: $vgpr27
                                        ; implicit-def: $vgpr33
                                        ; implicit-def: $vgpr26
                                        ; implicit-def: $vgpr32
                                        ; implicit-def: $vgpr25
                                        ; implicit-def: $vgpr31
                                        ; implicit-def: $vgpr24
                                        ; implicit-def: $vgpr30
                                        ; implicit-def: $vgpr23
                                        ; implicit-def: $vgpr29
                                        ; implicit-def: $vgpr22
                                        ; implicit-def: $vgpr7
                                        ; implicit-def: $vgpr21
                                        ; implicit-def: $vgpr35
                                        ; implicit-def: $vgpr20
                                        ; implicit-def: $vgpr36
                                        ; implicit-def: $vgpr15
                                        ; implicit-def: $vgpr38
                                        ; implicit-def: $vgpr43
                                        ; implicit-def: $vgpr42
                                        ; implicit-def: $vgpr41
                                        ; implicit-def: $vgpr40
                                        ; implicit-def: $vgpr14
                                        ; implicit-def: $vgpr39
                                        ; implicit-def: $vgpr18
                                        ; implicit-def: $vgpr37
	s_waitcnt lgkmcnt(0)
	v_mul_lo_u32 v5, s0, v11
	v_mul_lo_u32 v6, s1, v10
	v_mad_u64_u32 v[8:9], null, s0, v10, v[1:2]
	v_mul_u32_u24_e32 v1, 0x77, v3
	v_cmp_gt_u64_e32 vcc_lo, s[4:5], v[10:11]
                                        ; implicit-def: $vgpr10
                                        ; implicit-def: $vgpr11
	v_sub_nc_u32_e32 v12, v0, v1
	v_add3_u32 v9, v6, v9, v5
	v_mov_b32_e32 v0, 0
                                        ; implicit-def: $vgpr5
                                        ; implicit-def: $vgpr6
	s_and_saveexec_b32 s1, vcc_lo
	s_cbranch_execz .LBB0_13
; %bb.10:
	v_cmp_gt_u32_e64 s0, 63, v12
	v_mov_b32_e32 v0, 0
	v_mov_b32_e32 v4, 0
                                        ; implicit-def: $vgpr37
                                        ; implicit-def: $vgpr18
                                        ; implicit-def: $vgpr39
                                        ; implicit-def: $vgpr14
                                        ; implicit-def: $vgpr40
                                        ; implicit-def: $vgpr11
                                        ; implicit-def: $vgpr41
                                        ; implicit-def: $vgpr10
                                        ; implicit-def: $vgpr42
                                        ; implicit-def: $vgpr6
                                        ; implicit-def: $vgpr43
                                        ; implicit-def: $vgpr5
                                        ; implicit-def: $vgpr38
                                        ; implicit-def: $vgpr15
                                        ; implicit-def: $vgpr36
                                        ; implicit-def: $vgpr20
                                        ; implicit-def: $vgpr35
                                        ; implicit-def: $vgpr21
                                        ; implicit-def: $vgpr7
                                        ; implicit-def: $vgpr22
                                        ; implicit-def: $vgpr29
                                        ; implicit-def: $vgpr23
                                        ; implicit-def: $vgpr30
                                        ; implicit-def: $vgpr24
                                        ; implicit-def: $vgpr31
                                        ; implicit-def: $vgpr25
                                        ; implicit-def: $vgpr32
                                        ; implicit-def: $vgpr26
                                        ; implicit-def: $vgpr33
                                        ; implicit-def: $vgpr27
                                        ; implicit-def: $vgpr34
                                        ; implicit-def: $vgpr28
	s_and_saveexec_b32 s4, s0
	s_cbranch_execz .LBB0_12
; %bb.11:
	v_add_nc_u32_e32 v7, 63, v12
	v_mad_u64_u32 v[0:1], null, s2, v12, 0
	v_add_nc_u32_e32 v15, 0x7e, v12
	v_lshlrev_b64 v[10:11], 2, v[8:9]
	v_mad_u64_u32 v[2:3], null, s2, v7, 0
	v_add_nc_u32_e32 v16, 0xbd, v12
	v_add_nc_u32_e32 v17, 0xfc, v12
	;; [unrolled: 1-line block ×3, first 2 shown]
	v_add_co_u32 v35, s0, s12, v10
	v_add_co_ci_u32_e64 v36, s0, s13, v11, s0
	v_mad_u64_u32 v[4:5], null, s3, v12, v[1:2]
	v_mad_u64_u32 v[5:6], null, s2, v15, 0
	;; [unrolled: 1-line block ×3, first 2 shown]
	v_add_nc_u32_e32 v21, 0x17a, v12
	v_add_nc_u32_e32 v22, 0x1b9, v12
	v_mov_b32_e32 v1, v4
	v_add_nc_u32_e32 v25, 0x1f8, v12
	v_mov_b32_e32 v4, v6
	v_add_nc_u32_e32 v27, 0x237, v12
	v_add_nc_u32_e32 v28, 0x3f0, v12
	v_lshlrev_b64 v[0:1], 2, v[0:1]
	v_mad_u64_u32 v[6:7], null, s3, v7, v[3:4]
	v_mad_u64_u32 v[10:11], null, s3, v15, v[4:5]
	v_mov_b32_e32 v4, v14
	v_add_co_u32 v0, s0, v35, v0
	v_add_co_ci_u32_e64 v1, s0, v36, v1, s0
	v_mov_b32_e32 v3, v6
	v_mov_b32_e32 v6, v10
	v_mad_u64_u32 v[10:11], null, s2, v17, 0
	v_mad_u64_u32 v[14:15], null, s3, v16, v[4:5]
	v_lshlrev_b64 v[4:5], 2, v[5:6]
	v_mad_u64_u32 v[15:16], null, s2, v19, 0
	v_lshlrev_b64 v[2:3], 2, v[2:3]
	v_mov_b32_e32 v6, v11
	v_mad_u64_u32 v[23:24], null, s2, v27, 0
	v_lshlrev_b64 v[13:14], 2, v[13:14]
	v_mad_u64_u32 v[6:7], null, s3, v17, v[6:7]
	v_mov_b32_e32 v7, v16
	v_mad_u64_u32 v[17:18], null, s2, v21, 0
	v_add_co_u32 v2, s0, v35, v2
	v_add_co_ci_u32_e64 v3, s0, v36, v3, s0
	v_mov_b32_e32 v11, v6
	v_mad_u64_u32 v[6:7], null, s3, v19, v[7:8]
	v_mov_b32_e32 v7, v18
	v_mad_u64_u32 v[19:20], null, s2, v22, 0
	v_add_co_u32 v4, s0, v35, v4
	v_lshlrev_b64 v[10:11], 2, v[10:11]
	v_mov_b32_e32 v16, v6
	v_mad_u64_u32 v[6:7], null, s3, v21, v[7:8]
	v_mov_b32_e32 v7, v20
	v_add_co_ci_u32_e64 v5, s0, v36, v5, s0
	v_add_co_u32 v13, s0, v35, v13
	v_lshlrev_b64 v[15:16], 2, v[15:16]
	v_mov_b32_e32 v18, v6
	v_mad_u64_u32 v[6:7], null, s3, v22, v[7:8]
	v_mad_u64_u32 v[21:22], null, s2, v25, 0
	v_add_co_ci_u32_e64 v14, s0, v36, v14, s0
	v_add_co_u32 v10, s0, v35, v10
	v_mov_b32_e32 v20, v6
	v_lshlrev_b64 v[6:7], 2, v[17:18]
	v_add_co_ci_u32_e64 v11, s0, v36, v11, s0
	v_add_co_u32 v15, s0, v35, v15
	v_lshlrev_b64 v[18:19], 2, v[19:20]
	v_mov_b32_e32 v17, v22
	v_add_co_ci_u32_e64 v16, s0, v36, v16, s0
	v_add_co_u32 v6, s0, v35, v6
	v_add_co_ci_u32_e64 v7, s0, v36, v7, s0
	v_mad_u64_u32 v[25:26], null, s3, v25, v[17:18]
	v_add_co_u32 v18, s0, v35, v18
	v_add_co_ci_u32_e64 v19, s0, v36, v19, s0
	s_clause 0x7
	global_load_dword v0, v[0:1], off
	global_load_dword v34, v[2:3], off
	global_load_dword v33, v[4:5], off
	global_load_dword v32, v[13:14], off
	global_load_dword v31, v[10:11], off
	global_load_dword v30, v[15:16], off
	global_load_dword v29, v[6:7], off
	global_load_dword v7, v[18:19], off
	v_mov_b32_e32 v17, v24
	v_add_nc_u32_e32 v20, 0x276, v12
	v_mov_b32_e32 v22, v25
	v_add_nc_u32_e32 v19, 0x2f4, v12
	v_mad_u64_u32 v[24:25], null, s3, v27, v[17:18]
	v_mad_u64_u32 v[25:26], null, s2, v20, 0
	v_add_nc_u32_e32 v17, 0x2b5, v12
	v_lshlrev_b64 v[1:2], 2, v[21:22]
	v_mad_u64_u32 v[13:14], null, s2, v19, 0
	v_mad_u64_u32 v[4:5], null, s2, v17, 0
	v_mov_b32_e32 v3, v26
	v_add_co_u32 v1, s0, v35, v1
	v_add_co_ci_u32_e64 v2, s0, v36, v2, s0
	v_mad_u64_u32 v[10:11], null, s3, v20, v[3:4]
	v_mov_b32_e32 v3, v5
	v_lshlrev_b64 v[5:6], 2, v[23:24]
	v_mov_b32_e32 v26, v10
	v_mad_u64_u32 v[10:11], null, s3, v17, v[3:4]
	v_add_co_u32 v15, s0, v35, v5
	v_add_co_ci_u32_e64 v16, s0, v36, v6, s0
	v_add_nc_u32_e32 v6, 0x333, v12
	v_mov_b32_e32 v3, v14
	v_mov_b32_e32 v5, v10
	v_lshlrev_b64 v[17:18], 2, v[25:26]
	v_add_nc_u32_e32 v25, 0x372, v12
	v_mad_u64_u32 v[10:11], null, s2, v6, 0
	v_mad_u64_u32 v[19:20], null, s3, v19, v[3:4]
	;; [unrolled: 1-line block ×3, first 2 shown]
	v_lshlrev_b64 v[4:5], 2, v[4:5]
	v_add_co_u32 v17, s0, v35, v17
	v_mov_b32_e32 v3, v11
	v_mov_b32_e32 v14, v19
	v_add_nc_u32_e32 v19, 0x3b1, v12
	v_add_co_ci_u32_e64 v18, s0, v36, v18, s0
	v_mad_u64_u32 v[22:23], null, s3, v6, v[3:4]
	v_mad_u64_u32 v[23:24], null, s2, v19, 0
	v_mov_b32_e32 v3, v21
	v_lshlrev_b64 v[13:14], 2, v[13:14]
	v_mov_b32_e32 v11, v22
	v_mad_u64_u32 v[25:26], null, s3, v25, v[3:4]
	v_add_co_u32 v3, s0, v35, v4
	v_mad_u64_u32 v[26:27], null, s2, v28, 0
	v_add_co_ci_u32_e64 v4, s0, v36, v5, s0
	v_mov_b32_e32 v5, v24
	v_mov_b32_e32 v21, v25
	v_lshlrev_b64 v[10:11], 2, v[10:11]
	v_add_co_u32 v13, s0, v35, v13
	v_mad_u64_u32 v[5:6], null, s3, v19, v[5:6]
	v_mov_b32_e32 v6, v27
	v_add_co_ci_u32_e64 v14, s0, v36, v14, s0
	v_lshlrev_b64 v[19:20], 2, v[20:21]
	v_mov_b32_e32 v24, v5
	v_add_co_u32 v5, s0, v35, v10
	s_waitcnt vmcnt(3)
	v_lshrrev_b32_e32 v25, 16, v31
	s_waitcnt vmcnt(0)
	v_mad_u64_u32 v[27:28], null, s3, v28, v[6:7]
	v_add_co_ci_u32_e64 v6, s0, v36, v11, s0
	v_lshlrev_b64 v[10:11], 2, v[23:24]
	v_add_co_u32 v19, s0, v35, v19
	v_add_co_ci_u32_e64 v20, s0, v36, v20, s0
	v_lshlrev_b64 v[21:22], 2, v[26:27]
	v_add_co_u32 v10, s0, v35, v10
	v_add_co_ci_u32_e64 v11, s0, v36, v11, s0
	v_lshrrev_b32_e32 v28, 16, v34
	v_add_co_u32 v21, s0, v35, v21
	v_add_co_ci_u32_e64 v22, s0, v36, v22, s0
	s_clause 0x8
	global_load_dword v35, v[1:2], off
	global_load_dword v36, v[15:16], off
	;; [unrolled: 1-line block ×9, first 2 shown]
	v_lshrrev_b32_e32 v4, 16, v0
	v_lshrrev_b32_e32 v27, 16, v33
	;; [unrolled: 1-line block ×6, first 2 shown]
	s_waitcnt vmcnt(8)
	v_lshrrev_b32_e32 v21, 16, v35
	s_waitcnt vmcnt(7)
	v_lshrrev_b32_e32 v20, 16, v36
	;; [unrolled: 2-line block ×9, first 2 shown]
.LBB0_12:
	s_or_b32 exec_lo, exec_lo, s4
	v_mov_b32_e32 v13, v12
.LBB0_13:
	s_or_b32 exec_lo, exec_lo, s1
	v_add_f16_e32 v60, v34, v43
	v_sub_f16_e32 v61, v28, v5
	v_add_f16_e32 v58, v33, v42
	v_sub_f16_e32 v59, v27, v6
	v_add_f16_e32 v72, v32, v41
	v_pk_mul_f16 v48, 0x2de8b8d2, v60 op_sel_hi:[1,0]
	v_sub_f16_e32 v73, v26, v10
	v_pk_mul_f16 v47, 0xbbddb461, v58 op_sel_hi:[1,0]
	v_add_f16_e32 v63, v31, v40
	v_pk_mul_f16 v44, 0xb4613b76, v72 op_sel_hi:[1,0]
	v_pk_fma_f16 v1, 0xbbf7ba62, v61, v48 op_sel_hi:[1,0,1]
	v_sub_f16_e32 v67, v25, v11
	v_pk_fma_f16 v2, 0xb1e13bb2, v59, v47 op_sel_hi:[1,0,1]
	v_add_f16_e32 v62, v30, v39
	v_pk_fma_f16 v16, 0x3bb2b5c8, v73, v44 op_sel_hi:[1,0,1]
	v_pk_add_f16 v3, v0, v1 op_sel_hi:[0,1]
	v_pk_mul_f16 v1, 0x3b76bacd, v63 op_sel_hi:[1,0]
	v_sub_f16_e32 v70, v24, v14
	v_add_f16_e32 v66, v29, v38
	v_pk_mul_f16 v45, 0x37222de8, v62 op_sel_hi:[1,0]
	v_pk_add_f16 v2, v3, v2
	v_pk_mul_f16 v3, 0xb1e1b836, v61 op_sel_hi:[1,0]
	v_pk_fma_f16 v17, 0x35c8b836, v67, v1 op_sel_hi:[1,0,1]
	v_sub_f16_e32 v51, v23, v15
	v_add_f16_e32 v50, v7, v37
	v_pk_add_f16 v2, v2, v16
	v_pk_mul_f16 v16, 0x35c83b29, v59 op_sel_hi:[1,0]
	v_pk_fma_f16 v19, 0xbbddbacd, v60, v3 op_sel_hi:[1,0,1] neg_lo:[0,0,1] neg_hi:[0,0,1]
	v_pk_fma_f16 v49, 0xbb293bf7, v70, v45 op_sel_hi:[1,0,1]
	v_pk_mul_f16 v46, 0xbacd39e9, v66 op_sel_hi:[1,0]
	v_pk_add_f16 v17, v2, v17
	v_sub_f16_e32 v54, v22, v18
	v_pk_mul_f16 v2, 0xb8d2bbdd, v50 op_sel_hi:[1,0]
	v_pk_fma_f16 v52, 0x3b763722, v58, v16 op_sel_hi:[1,0,1] neg_lo:[0,0,1] neg_hi:[0,0,1]
	v_pk_add_f16 v19, v0, v19 op_sel_hi:[0,1]
	v_pk_add_f16 v17, v17, v49
	v_pk_fma_f16 v49, 0xb836b964, v51, v46 op_sel_hi:[1,0,1]
	v_pk_mul_f16 v53, 0xbbddbacd, v60 op_sel_hi:[1,0]
	v_mul_f16_e32 v76, 0xbbb2, v61
	v_mul_f16_e32 v79, 0xb461, v60
	v_pk_fma_f16 v55, 0x3a62b1e1, v54, v2 op_sel_hi:[1,0,1]
	v_pk_add_f16 v17, v49, v17
	v_pk_add_f16 v19, v19, v52
	v_pack_b32_f16 v49, v76, v3
	v_pack_b32_f16 v56, v79, v53
	v_pk_mul_f16 v52, 0x3b763722, v58 op_sel_hi:[1,0]
	v_mul_f16_e32 v77, 0x3836, v59
	v_mul_f16_e32 v78, 0xbacd, v58
	v_pk_add_f16 v17, v17, v55
	v_add_f16_sdwa v3, v3, v53 dst_sel:DWORD dst_unused:UNUSED_PAD src0_sel:WORD_1 src1_sel:WORD_1
	v_pk_add_f16 v49, v49, v56
	v_pack_b32_f16 v53, v77, v16
	v_pack_b32_f16 v56, v78, v52
	v_mul_f16_e32 v71, 0x39e9, v72
	v_mul_f16_e32 v55, 0x3964, v73
	v_pk_mul_f16 v57, 0xb836bbf7, v73 op_sel_hi:[1,0]
	v_pk_mul_f16 v64, 0xbacd2de8, v72 op_sel_hi:[1,0]
	v_add_f16_sdwa v16, v16, v52 dst_sel:DWORD dst_unused:UNUSED_PAD src0_sel:WORD_1 src1_sel:WORD_1
	v_pk_add_f16 v56, v53, v56
	v_pk_add_f16 v49, v0, v49 op_sel_hi:[0,1]
	v_pack_b32_f16 v65, v55, v57
	v_pack_b32_f16 v68, v71, v64
	v_mul_f16_e32 v52, 0x3722, v63
	v_mul_f16_e32 v53, 0xbb29, v67
	v_pk_mul_f16 v69, 0x39643a62, v67 op_sel_hi:[1,0]
	v_pk_mul_f16 v74, 0x39e9b8d2, v63 op_sel_hi:[1,0]
	v_pk_add_f16 v56, v49, v56
	v_pk_add_f16 v65, v65, v68
	v_add_f16_e32 v3, v0, v3
	v_pack_b32_f16 v68, v53, v69
	v_pack_b32_f16 v75, v52, v74
	v_add_f16_sdwa v64, v57, v64 dst_sel:DWORD dst_unused:UNUSED_PAD src0_sel:WORD_1 src1_sel:WORD_1
	v_pk_mul_f16 v82, 0xb8d23b76, v62 op_sel_hi:[1,0]
	v_add_f16_e32 v3, v3, v16
	v_pk_add_f16 v16, v56, v65
	v_pk_add_f16 v65, v68, v75
	v_pk_fma_f16 v68, 0xbacd2de8, v72, v57 op_sel_hi:[1,0,1] neg_lo:[0,0,1] neg_hi:[0,0,1]
	v_mul_f16_e32 v56, 0xbbdd, v62
	v_mul_f16_e32 v57, 0xb1e1, v70
	v_pk_mul_f16 v75, 0xba62b5c8, v70 op_sel_hi:[1,0]
	v_add_f16_e32 v3, v3, v64
	v_pk_add_f16 v19, v19, v68
	v_pk_add_f16 v16, v16, v65
	v_pack_b32_f16 v83, v56, v82
	v_pack_b32_f16 v68, v57, v75
	v_mul_f16_e32 v64, 0x2de8, v66
	v_mul_f16_e32 v65, 0x3bf7, v51
	v_pk_mul_f16 v84, 0x3b29b1e1, v51 op_sel_hi:[1,0]
	v_pk_mul_f16 v85, 0x3722bbdd, v66 op_sel_hi:[1,0]
	v_pk_add_f16 v68, v68, v83
	v_pk_fma_f16 v83, 0x39e9b8d2, v63, v69 op_sel_hi:[1,0,1] neg_lo:[0,0,1] neg_hi:[0,0,1]
	v_add_f16_sdwa v69, v69, v74 dst_sel:DWORD dst_unused:UNUSED_PAD src0_sel:WORD_1 src1_sel:WORD_1
	v_pack_b32_f16 v74, v65, v84
	v_pack_b32_f16 v86, v64, v85
	v_add_f16_e32 v80, v35, v36
	v_sub_f16_e32 v81, v21, v20
	v_pk_add_f16 v19, v19, v83
	v_add_f16_e32 v3, v3, v69
	v_pk_add_f16 v16, v16, v68
	v_pk_add_f16 v74, v74, v86
	v_add_f16_sdwa v82, v75, v82 dst_sel:DWORD dst_unused:UNUSED_PAD src0_sel:WORD_1 src1_sel:WORD_1
	v_pk_fma_f16 v75, 0xb8d23b76, v62, v75 op_sel_hi:[1,0,1] neg_lo:[0,0,1] neg_hi:[0,0,1]
	v_mul_f16_e32 v68, 0x3b76, v50
	v_mul_f16_e32 v69, 0xb5c8, v54
	v_pk_mul_f16 v83, 0xbbb23964, v54 op_sel_hi:[1,0]
	v_pk_mul_f16 v86, 0xb46139e9, v50 op_sel_hi:[1,0]
	v_pk_add_f16 v19, v19, v75
	v_add_f16_e32 v3, v3, v82
	v_pk_add_f16 v16, v74, v16
	v_pack_b32_f16 v82, v69, v83
	v_pack_b32_f16 v88, v68, v86
	v_add_f16_sdwa v85, v84, v85 dst_sel:DWORD dst_unused:UNUSED_PAD src0_sel:WORD_1 src1_sel:WORD_1
	v_mul_f16_e32 v74, 0xb8d2, v80
	v_mul_f16_e32 v75, 0xba62, v81
	v_pk_mul_f16 v89, 0x3bf7bbb2, v81 op_sel_hi:[1,0]
	v_pk_mul_f16 v90, 0x2de8b461, v80 op_sel_hi:[1,0]
	v_pk_fma_f16 v84, 0x3722bbdd, v66, v84 op_sel_hi:[1,0,1] neg_lo:[0,0,1] neg_hi:[0,0,1]
	v_pk_mul_f16 v49, 0x39e93722, v80 op_sel_hi:[1,0]
	v_pk_add_f16 v82, v82, v88
	v_add_f16_e32 v3, v85, v3
	v_pack_b32_f16 v85, v75, v89
	v_pack_b32_f16 v88, v74, v90
	v_add_f16_sdwa v86, v83, v86 dst_sel:DWORD dst_unused:UNUSED_PAD src0_sel:WORD_1 src1_sel:WORD_1
	v_pk_add_f16 v19, v84, v19
	v_pk_fma_f16 v83, 0xb46139e9, v50, v83 op_sel_hi:[1,0,1] neg_lo:[0,0,1] neg_hi:[0,0,1]
	v_pk_fma_f16 v87, 0x39643b29, v81, v49 op_sel_hi:[1,0,1]
	v_pk_add_f16 v16, v16, v82
	v_pk_add_f16 v82, v85, v88
	v_add_f16_e32 v3, v3, v86
	v_add_f16_sdwa v84, v89, v90 dst_sel:DWORD dst_unused:UNUSED_PAD src0_sel:WORD_1 src1_sel:WORD_1
	v_pk_add_f16 v83, v19, v83
	v_pk_fma_f16 v85, 0x2de8b461, v80, v89 op_sel_hi:[1,0,1] neg_lo:[0,0,1] neg_hi:[0,0,1]
	v_pk_add_f16 v17, v87, v17
	v_pk_add_f16 v16, v82, v16
	v_add_f16_e32 v19, v84, v3
	v_cmp_gt_u32_e64 s1, 63, v12
	v_pk_add_f16 v3, v85, v83
	s_and_saveexec_b32 s0, s1
	s_cbranch_execz .LBB0_15
; %bb.14:
	v_pack_b32_f16 v82, v60, v60
	v_pack_b32_f16 v83, v61, v61
	;; [unrolled: 1-line block ×5, first 2 shown]
	v_pk_mul_f16 v88, 0x39e93b76, v82
	v_pk_mul_f16 v83, 0xb964b5c8, v83
	v_pack_b32_f16 v89, v73, v73
	v_pk_mul_f16 v92, 0x2de839e9, v85
	v_pk_mul_f16 v86, 0xbbf7b964, v86
	v_pack_b32_f16 v90, v63, v63
	v_add_f16_e32 v93, v83, v88
	v_pack_b32_f16 v91, v67, v67
	v_pk_mul_f16 v96, 0xb8d23722, v87
	v_add_f16_e32 v97, v86, v92
	v_pk_mul_f16 v89, 0xba62bb29, v89
	v_add_f16_e32 v93, v0, v93
	v_perm_b32 v84, v0, v0, 0x5040100
	v_pack_b32_f16 v94, v62, v62
	v_pack_b32_f16 v95, v70, v70
	v_pk_mul_f16 v100, 0xbbdd2de8, v90
	v_add_f16_e32 v93, v93, v97
	v_add_f16_e32 v97, v89, v96
	v_pk_mul_f16 v91, 0xb1e1bbf7, v91
	v_pk_fma_f16 v82, 0x39e93b76, v82, v83 neg_lo:[0,0,1] neg_hi:[0,0,1]
	v_add_f16_e32 v0, v0, v34
	v_pack_b32_f16 v98, v66, v66
	v_pack_b32_f16 v99, v51, v51
	v_pk_mul_f16 v103, 0xbacdb461, v94
	v_add_f16_e32 v93, v93, v97
	v_add_f16_e32 v97, v91, v100
	v_pk_mul_f16 v95, 0x3836bbb2, v95
	v_pk_add_f16 v82, v84, v82
	v_pk_fma_f16 v85, 0x2de839e9, v85, v86 neg_lo:[0,0,1] neg_hi:[0,0,1]
	v_add_f16_e32 v0, v0, v33
	v_pack_b32_f16 v101, v50, v50
	v_pack_b32_f16 v102, v54, v54
	v_pk_mul_f16 v106, 0xb461b8d2, v98
	v_add_f16_e32 v93, v93, v97
	v_add_f16_e32 v97, v95, v103
	v_pk_mul_f16 v99, 0x3bb2ba62, v99
	v_pk_add_f16 v82, v82, v85
	v_pk_fma_f16 v85, 0xb8d23722, v87, v89 neg_lo:[0,0,1] neg_hi:[0,0,1]
	v_add_f16_e32 v0, v0, v32
	v_pack_b32_f16 v104, v80, v80
	v_pack_b32_f16 v105, v81, v81
	v_pk_mul_f16 v107, 0x3722bacd, v101
	v_pk_mul_f16 v102, 0x3b29b836, v102
	v_add_f16_e32 v93, v93, v97
	v_add_f16_e32 v97, v99, v106
	v_pk_mul_f16 v87, 0xbbf7ba62, v61 op_sel_hi:[1,0]
	v_pk_add_f16 v82, v82, v85
	v_pk_fma_f16 v85, 0xbbdd2de8, v90, v91 neg_lo:[0,0,1] neg_hi:[0,0,1]
	v_mul_f16_e32 v60, 0x3722, v60
	v_mul_f16_e32 v61, 0xbb29, v61
	v_add_f16_e32 v0, v0, v31
	v_pk_mul_f16 v108, 0x3b76bbdd, v104
	v_pk_mul_f16 v105, 0x35c8b1e1, v105
	v_add_f16_e32 v93, v97, v93
	v_add_f16_e32 v97, v102, v107
	v_pk_mul_f16 v90, 0xb1e13bb2, v59 op_sel_hi:[1,0]
	v_pk_add_f16 v82, v82, v85
	v_pk_fma_f16 v85, 0xbacdb461, v94, v95 neg_lo:[0,0,1] neg_hi:[0,0,1]
	v_mul_f16_e32 v58, 0xb8d2, v58
	v_mul_f16_e32 v59, 0xba62, v59
	v_bfi_b32 v94, 0xffff, v60, v48
	v_bfi_b32 v109, 0xffff, v61, v87
	v_add_f16_e32 v0, v0, v30
	v_perm_b32 v48, v48, v79, 0x5040100
	v_perm_b32 v76, v87, v76, 0x5040100
	v_add_f16_e32 v93, v93, v97
	v_add_f16_e32 v97, v105, v108
	v_bfi_b32 v110, 0xffff, v58, v47
	v_bfi_b32 v111, 0xffff, v59, v90
	v_pk_add_f16 v82, v82, v85
	v_pk_add_f16 v85, v94, v109 neg_lo:[0,1] neg_hi:[0,1]
	v_add_f16_e32 v0, v0, v29
	v_pk_add_f16 v48, v48, v76 neg_lo:[0,1] neg_hi:[0,1]
	v_perm_b32 v47, v47, v78, 0x5040100
	v_perm_b32 v77, v90, v77, 0x5040100
	v_add_f16_e32 v93, v97, v93
	v_pk_add_f16 v94, v110, v111 neg_lo:[0,1] neg_hi:[0,1]
	v_pk_mul_f16 v97, 0x3bb2b5c8, v73 op_sel_hi:[1,0]
	v_pk_fma_f16 v98, 0xb461b8d2, v98, v99 neg_lo:[0,0,1] neg_hi:[0,0,1]
	v_pk_add_f16 v85, v84, v85
	v_mul_f16_e32 v72, 0xbbdd, v72
	v_add_f16_e32 v0, v0, v7
	v_mul_f16_e32 v73, 0x31e1, v73
	v_pk_add_f16 v48, v84, v48
	v_pk_add_f16 v47, v47, v77 neg_lo:[0,1] neg_hi:[0,1]
	v_bfi_b32 v61, 0xffff, v61, v83
	v_bfi_b32 v60, 0xffff, v60, v88
	v_pk_add_f16 v82, v98, v82
	v_pk_add_f16 v85, v85, v94
	v_bfi_b32 v94, 0xffff, v72, v44
	v_add_f16_e32 v0, v0, v35
	v_bfi_b32 v98, 0xffff, v73, v97
	v_pk_mul_f16 v109, 0x35c8b836, v67 op_sel_hi:[1,0]
	v_mul_f16_e32 v63, 0xb461, v63
	v_perm_b32 v44, v44, v71, 0x5040100
	v_perm_b32 v55, v97, v55, 0x5040100
	v_pk_add_f16 v47, v48, v47
	v_pk_add_f16 v48, v61, v60
	v_bfi_b32 v59, 0xffff, v59, v86
	v_bfi_b32 v58, 0xffff, v58, v92
	v_pk_fma_f16 v101, 0x3722bacd, v101, v102 neg_lo:[0,0,1] neg_hi:[0,0,1]
	v_add_f16_e32 v0, v0, v36
	v_mul_f16_e32 v67, 0x3bb2, v67
	v_pk_add_f16 v94, v94, v98 neg_lo:[0,1] neg_hi:[0,1]
	v_bfi_b32 v98, 0xffff, v63, v1
	v_pk_add_f16 v44, v44, v55 neg_lo:[0,1] neg_hi:[0,1]
	v_perm_b32 v1, v1, v52, 0x5040100
	v_perm_b32 v52, v109, v53, 0x5040100
	v_pk_add_f16 v48, v84, v48
	v_pk_add_f16 v53, v59, v58
	v_bfi_b32 v55, 0xffff, v73, v89
	v_bfi_b32 v58, 0xffff, v72, v96
	v_pk_add_f16 v82, v82, v101
	v_add_f16_e32 v0, v0, v37
	v_bfi_b32 v101, 0xffff, v67, v109
	v_pk_mul_f16 v110, 0xbb293bf7, v70 op_sel_hi:[1,0]
	v_mul_f16_e32 v62, 0x39e9, v62
	v_mul_f16_e32 v70, 0x3964, v70
	v_pk_add_f16 v44, v47, v44
	v_pk_add_f16 v1, v1, v52 neg_lo:[0,1] neg_hi:[0,1]
	v_pk_add_f16 v47, v48, v53
	v_pk_add_f16 v48, v55, v58
	v_bfi_b32 v52, 0xffff, v67, v91
	v_bfi_b32 v53, 0xffff, v63, v100
	v_add_f16_e32 v0, v38, v0
	v_pk_add_f16 v85, v85, v94
	v_pk_add_f16 v94, v98, v101 neg_lo:[0,1] neg_hi:[0,1]
	v_bfi_b32 v98, 0xffff, v62, v45
	v_bfi_b32 v101, 0xffff, v70, v110
	v_mul_f16_e32 v66, 0x3b76, v66
	v_pk_mul_f16 v111, 0xb836b964, v51 op_sel_hi:[1,0]
	v_mul_f16_e32 v51, 0xb5c8, v51
	v_pk_add_f16 v1, v44, v1
	v_perm_b32 v44, v45, v56, 0x5040100
	v_perm_b32 v45, v110, v57, 0x5040100
	v_pk_add_f16 v47, v47, v48
	v_pk_add_f16 v48, v52, v53
	v_bfi_b32 v52, 0xffff, v70, v95
	v_bfi_b32 v53, 0xffff, v62, v103
	v_add_f16_e32 v0, v39, v0
	v_pk_add_f16 v85, v85, v94
	v_pk_add_f16 v94, v98, v101 neg_lo:[0,1] neg_hi:[0,1]
	v_bfi_b32 v98, 0xffff, v66, v46
	v_bfi_b32 v101, 0xffff, v51, v111
	v_pk_add_f16 v44, v44, v45 neg_lo:[0,1] neg_hi:[0,1]
	v_perm_b32 v45, v46, v64, 0x5040100
	v_perm_b32 v46, v111, v65, 0x5040100
	v_pk_mul_f16 v87, 0x3a62b1e1, v54 op_sel_hi:[1,0]
	v_mul_f16_e32 v50, 0x2de8, v50
	v_mul_f16_e32 v54, 0xbbf7, v54
	v_pk_add_f16 v47, v47, v48
	v_pk_add_f16 v48, v52, v53
	v_bfi_b32 v51, 0xffff, v51, v99
	v_bfi_b32 v52, 0xffff, v66, v106
	v_add_f16_e32 v0, v40, v0
	v_pk_add_f16 v79, v85, v94
	v_pk_add_f16 v85, v98, v101 neg_lo:[0,1] neg_hi:[0,1]
	v_pk_add_f16 v1, v1, v44
	v_pk_add_f16 v44, v45, v46 neg_lo:[0,1] neg_hi:[0,1]
	v_pk_mul_f16 v76, 0x39643b29, v81 op_sel_hi:[1,0]
	v_mul_f16_e32 v80, 0xbacd, v80
	v_mul_f16_e32 v81, 0xb836, v81
	v_pk_add_f16 v45, v47, v48
	v_pk_add_f16 v46, v51, v52
	v_bfi_b32 v47, 0xffff, v54, v102
	v_bfi_b32 v48, 0xffff, v50, v107
	v_add_f16_e32 v0, v41, v0
	v_pk_add_f16 v78, v85, v79
	v_bfi_b32 v79, 0xffff, v50, v2
	v_bfi_b32 v85, 0xffff, v54, v87
	v_pk_add_f16 v1, v44, v1
	v_perm_b32 v2, v2, v68, 0x5040100
	v_perm_b32 v44, v87, v69, 0x5040100
	v_pk_add_f16 v45, v46, v45
	v_pk_add_f16 v46, v47, v48
	v_bfi_b32 v47, 0xffff, v81, v105
	v_bfi_b32 v48, 0xffff, v80, v108
	v_add_f16_e32 v0, v42, v0
	v_pk_add_f16 v77, v79, v85 neg_lo:[0,1] neg_hi:[0,1]
	v_bfi_b32 v59, 0xffff, v80, v49
	v_bfi_b32 v53, 0xffff, v81, v76
	v_pk_add_f16 v2, v2, v44 neg_lo:[0,1] neg_hi:[0,1]
	v_perm_b32 v44, v49, v74, 0x5040100
	v_perm_b32 v49, v76, v75, 0x5040100
	v_pk_add_f16 v45, v45, v46
	v_pk_add_f16 v46, v47, v48
	v_add_f16_e32 v94, v43, v0
	v_pk_fma_f16 v0, 0x3b76bbdd, v104, v105 neg_lo:[0,0,1] neg_hi:[0,0,1]
	v_pk_add_f16 v47, v78, v77
	v_pk_add_f16 v48, v59, v53 neg_lo:[0,1] neg_hi:[0,1]
	v_pk_add_f16 v2, v1, v2
	v_pk_add_f16 v44, v44, v49 neg_lo:[0,1] neg_hi:[0,1]
	v_pk_add_f16 v45, v46, v45
	v_mad_u32_u24 v49, v12, 34, 0
	v_pk_add_f16 v0, v0, v82
	v_pk_add_f16 v1, v48, v47
	v_pk_add_f16 v2, v44, v2
	v_alignbit_b32 v47, v93, v45, 16
	v_alignbit_b32 v46, v45, v17, 16
	v_bfi_b32 v44, 0xffff, v19, v16
	v_perm_b32 v45, v16, v17, 0x5040100
	ds_write_b16 v49, v94
	ds_write_b128 v49, v[0:3] offset:2
	ds_write_b128 v49, v[44:47] offset:18
.LBB0_15:
	s_or_b32 exec_lo, exec_lo, s0
	v_lshl_add_u32 v0, v12, 1, 0
	s_waitcnt lgkmcnt(0)
	s_barrier
	buffer_gl0_inv
	v_cmp_gt_u32_e64 s0, 34, v12
	ds_read_u16 v1, v0
	ds_read_u16 v48, v0 offset:306
	ds_read_u16 v47, v0 offset:612
	;; [unrolled: 1-line block ×6, first 2 shown]
	s_and_saveexec_b32 s4, s0
	s_cbranch_execz .LBB0_17
; %bb.16:
	ds_read_u16 v3, v0 offset:238
	ds_read_u16 v16, v0 offset:1768
	;; [unrolled: 1-line block ×4, first 2 shown]
	s_waitcnt lgkmcnt(3)
	ds_read_u16_d16_hi v3, v0 offset:544
	s_waitcnt lgkmcnt(3)
	ds_read_u16_d16_hi v16, v0 offset:1156
	;; [unrolled: 2-line block ×3, first 2 shown]
.LBB0_17:
	s_or_b32 exec_lo, exec_lo, s4
	v_sub_f16_e32 v43, v34, v43
	v_add_f16_e32 v49, v28, v5
	v_sub_f16_e32 v50, v33, v42
	v_add_f16_e32 v51, v27, v6
	v_sub_f16_e32 v53, v32, v41
	v_mul_f16_e32 v61, 0xb836, v43
	v_sub_f16_e32 v54, v31, v40
	v_mul_f16_e32 v31, 0x3b29, v50
	v_add_f16_e32 v52, v26, v10
	v_mul_f16_e32 v62, 0xbbf7, v53
	v_fma_f16 v32, v49, 0xbacd, -v61
	v_pk_mul_f16 v41, 0xbbf7bbb2, v43 op_sel_hi:[1,0]
	v_fma_f16 v33, v51, 0x3722, -v31
	v_add_f16_e32 v55, v25, v11
	v_sub_f16_e32 v57, v30, v39
	v_add_f16_e32 v32, v4, v32
	v_fma_f16 v34, v52, 0x2de8, -v62
	v_mul_f16_e32 v65, 0x3a62, v54
	v_pk_mul_f16 v40, 0xb1e13836, v50 op_sel_hi:[1,0]
	v_add_f16_e32 v59, v24, v14
	v_add_f16_e32 v32, v32, v33
	v_pk_fma_f16 v33, 0x2de8b461, v49, v41 op_sel_hi:[1,0,1] neg_lo:[0,0,1] neg_hi:[0,0,1]
	v_mul_f16_e32 v67, 0xb5c8, v57
	v_pk_fma_f16 v39, 0xbbddbacd, v51, v40 op_sel_hi:[1,0,1] neg_lo:[0,0,1] neg_hi:[0,0,1]
	v_pk_mul_f16 v42, 0x3bb23964, v53 op_sel_hi:[1,0]
	v_add_f16_e32 v32, v32, v34
	v_fma_f16 v34, v55, 0xb8d2, -v65
	v_pk_add_f16 v33, v4, v33 op_sel_hi:[0,1]
	v_sub_f16_e32 v56, v29, v38
	v_pk_fma_f16 v58, 0xb46139e9, v52, v42 op_sel_hi:[1,0,1] neg_lo:[0,0,1] neg_hi:[0,0,1]
	v_add_f16_e32 v60, v23, v15
	v_add_f16_e32 v32, v32, v34
	v_fma_f16 v34, v59, 0x3b76, -v67
	v_pk_add_f16 v33, v33, v39
	v_pk_mul_f16 v39, 0x35c8bb29, v54 op_sel_hi:[1,0]
	v_sub_f16_e32 v38, v7, v37
	v_mul_f16_e32 v30, 0xbacd, v49
	v_add_f16_e32 v69, v32, v34
	v_pk_add_f16 v29, v33, v58
	v_pk_fma_f16 v32, 0x3b763722, v55, v39 op_sel_hi:[1,0,1] neg_lo:[0,0,1] neg_hi:[0,0,1]
	v_pk_mul_f16 v34, 0xbb29b1e1, v57 op_sel_hi:[1,0]
	v_pk_mul_f16 v33, 0xb8363bf7, v56 op_sel_hi:[1,0]
	v_add_f16_e32 v58, v22, v18
	v_pk_mul_f16 v74, 0xba62b1e1, v43 op_sel_hi:[1,0]
	v_pk_add_f16 v7, v29, v32
	v_pk_fma_f16 v29, 0x3722bbdd, v59, v34 op_sel_hi:[1,0,1] neg_lo:[0,0,1] neg_hi:[0,0,1]
	v_pk_mul_f16 v32, 0x3a62b5c8, v38 op_sel_hi:[1,0]
	v_pk_mul_f16 v77, 0xb8d2bbdd, v49 op_sel_hi:[1,0]
	v_mul_f16_e32 v63, 0x3722, v51
	v_pk_mul_f16 v75, 0x3bb235c8, v50 op_sel_hi:[1,0]
	v_pk_add_f16 v7, v7, v29
	v_pk_fma_f16 v29, 0xbacd2de8, v60, v33 op_sel_hi:[1,0,1] neg_lo:[0,0,1] neg_hi:[0,0,1]
	v_pack_b32_f16 v30, v30, v77
	v_pack_b32_f16 v61, v61, v74
	v_mul_f16_e32 v64, 0x2de8, v52
	v_pk_fma_f16 v79, 0xb4613b76, v51, v75 op_sel_hi:[1,0,1] neg_lo:[0,0,1] neg_hi:[0,0,1]
	v_pk_add_f16 v7, v29, v7
	v_pk_fma_f16 v29, 0xb8d23b76, v58, v32 op_sel_hi:[1,0,1] neg_lo:[0,0,1] neg_hi:[0,0,1]
	v_pk_mul_f16 v80, 0xb5c8b836, v53 op_sel_hi:[1,0]
	v_pk_add_f16 v30, v30, v61
	v_pack_b32_f16 v31, v31, v75
	v_mul_f16_e32 v66, 0xb8d2, v55
	v_pk_add_f16 v7, v7, v29
	v_pk_fma_f16 v29, 0xb8d2bbdd, v49, v74 op_sel_hi:[1,0,1] neg_lo:[0,0,1] neg_hi:[0,0,1]
	v_pk_mul_f16 v74, 0xb4613b76, v51 op_sel_hi:[1,0]
	v_mul_f16_e32 v71, 0xb1e1, v56
	v_pk_fma_f16 v77, 0x3b76bacd, v52, v80 op_sel_hi:[1,0,1] neg_lo:[0,0,1] neg_hi:[0,0,1]
	v_pk_add_f16 v30, v4, v30 op_sel_hi:[0,1]
	v_pk_add_f16 v29, v4, v29 op_sel_hi:[0,1]
	v_pack_b32_f16 v61, v63, v74
	v_pk_mul_f16 v63, 0x3b76bacd, v52 op_sel_hi:[1,0]
	v_pack_b32_f16 v62, v62, v80
	v_mul_f16_e32 v68, 0x3b76, v59
	v_pk_add_f16 v29, v29, v79
	v_pk_mul_f16 v79, 0xb8363964, v54 op_sel_hi:[1,0]
	v_pk_add_f16 v31, v61, v31
	v_pack_b32_f16 v61, v64, v63
	v_pk_mul_f16 v63, 0xbacd39e9, v55 op_sel_hi:[1,0]
	v_fma_f16 v37, v60, 0xbbdd, -v71
	v_mul_f16_e32 v72, 0x3964, v38
	v_pk_add_f16 v29, v29, v77
	v_pk_fma_f16 v74, 0xbacd39e9, v55, v79 op_sel_hi:[1,0,1] neg_lo:[0,0,1] neg_hi:[0,0,1]
	v_pk_mul_f16 v64, 0x3bf7ba62, v57 op_sel_hi:[1,0]
	v_pk_add_f16 v30, v30, v31
	v_pk_add_f16 v31, v61, v62
	v_pack_b32_f16 v61, v66, v63
	v_pack_b32_f16 v62, v65, v79
	v_pk_mul_f16 v63, 0x2de8b8d2, v59 op_sel_hi:[1,0]
	v_mul_f16_e32 v70, 0xbbdd, v60
	v_add_f16_e32 v37, v37, v69
	v_fma_f16 v73, v58, 0x39e9, -v72
	v_pk_add_f16 v29, v29, v74
	v_pk_fma_f16 v65, 0x2de8b8d2, v59, v64 op_sel_hi:[1,0,1] neg_lo:[0,0,1] neg_hi:[0,0,1]
	v_pk_mul_f16 v66, 0xb9643b29, v56 op_sel_hi:[1,0]
	v_pk_add_f16 v30, v30, v31
	v_pk_add_f16 v31, v61, v62
	v_pack_b32_f16 v61, v68, v63
	v_pack_b32_f16 v62, v67, v64
	v_pk_mul_f16 v63, 0x39e93722, v60 op_sel_hi:[1,0]
	v_mul_f16_e32 v69, 0x39e9, v58
	v_sub_f16_e32 v36, v35, v36
	v_add_f16_e32 v73, v37, v73
	v_add_f16_e32 v37, v21, v20
	v_pk_add_f16 v29, v29, v65
	v_pk_fma_f16 v64, 0x39e93722, v60, v66 op_sel_hi:[1,0,1] neg_lo:[0,0,1] neg_hi:[0,0,1]
	v_pk_add_f16 v30, v30, v31
	v_pk_add_f16 v31, v61, v62
	v_pack_b32_f16 v61, v70, v63
	v_pack_b32_f16 v62, v71, v66
	v_pk_mul_f16 v63, 0xbbddb461, v58 op_sel_hi:[1,0]
	v_pk_mul_f16 v65, 0xb1e1bbb2, v38 op_sel_hi:[1,0]
	v_mul_f16_e32 v76, 0xb461, v37
	v_mul_f16_e32 v78, 0xbbb2, v36
	v_pk_add_f16 v29, v64, v29
	v_pk_add_f16 v30, v30, v31
	;; [unrolled: 1-line block ×3, first 2 shown]
	v_pack_b32_f16 v61, v69, v63
	v_pack_b32_f16 v62, v72, v65
	v_pk_mul_f16 v63, 0x37222de8, v37 op_sel_hi:[1,0]
	v_pk_mul_f16 v64, 0x3b293bf7, v36 op_sel_hi:[1,0]
	;; [unrolled: 1-line block ×3, first 2 shown]
	v_pk_fma_f16 v65, 0xbbddb461, v58, v65 op_sel_hi:[1,0,1] neg_lo:[0,0,1] neg_hi:[0,0,1]
	v_pk_add_f16 v30, v31, v30
	v_pk_add_f16 v31, v61, v62
	v_pack_b32_f16 v61, v76, v63
	v_pack_b32_f16 v62, v78, v64
	v_pk_fma_f16 v63, 0x39e9b8d2, v37, v35 op_sel_hi:[1,0,1] neg_lo:[0,0,1] neg_hi:[0,0,1]
	v_fma_f16 v66, v37, 0xb461, -v78
	v_pk_add_f16 v65, v29, v65
	v_pk_add_f16 v30, v30, v31
	;; [unrolled: 1-line block ×3, first 2 shown]
	v_pk_fma_f16 v62, 0x37222de8, v37, v64 op_sel_hi:[1,0,1] neg_lo:[0,0,1] neg_hi:[0,0,1]
	v_pk_add_f16 v29, v63, v7
	v_add_f16_e32 v31, v66, v73
	s_waitcnt lgkmcnt(0)
	v_pk_add_f16 v7, v61, v30
	v_pk_add_f16 v30, v62, v65
	s_barrier
	buffer_gl0_inv
	s_and_saveexec_b32 s4, s1
	s_cbranch_execz .LBB0_19
; %bb.18:
	v_add_f16_e32 v28, v4, v28
	v_pack_b32_f16 v61, v49, v49
	v_pack_b32_f16 v62, v43, v43
	;; [unrolled: 1-line block ×4, first 2 shown]
	v_add_f16_e32 v27, v28, v27
	v_pack_b32_f16 v28, v50, v50
	v_pk_mul_f16 v77, 0x3722bbdd, v59 op_sel_hi:[1,0]
	v_perm_b32 v63, v4, v4, 0x5040100
	v_pack_b32_f16 v65, v52, v52
	v_add_f16_e32 v26, v27, v26
	v_pack_b32_f16 v27, v54, v54
	v_pack_b32_f16 v66, v53, v53
	;; [unrolled: 1-line block ×4, first 2 shown]
	v_add_f16_e32 v25, v26, v25
	v_pack_b32_f16 v70, v60, v60
	v_pk_mul_f16 v76, 0xb46139e9, v52 op_sel_hi:[1,0]
	v_pk_mul_f16 v78, 0xbacd2de8, v60 op_sel_hi:[1,0]
	v_pk_mul_f16 v80, 0xbbf7b964, v28
	v_add_f16_e32 v24, v25, v24
	v_pk_mul_f16 v81, 0xba62bb29, v66
	v_pk_mul_f16 v82, 0xbbdd2de8, v67
	;; [unrolled: 1-line block ×3, first 2 shown]
	v_pk_fma_f16 v87, 0x2de839e9, v64, v80
	v_add_f16_e32 v23, v24, v23
	v_pk_mul_f16 v24, 0x3b763722, v55 op_sel_hi:[1,0]
	v_pk_mul_f16 v74, 0x2de8b461, v49 op_sel_hi:[1,0]
	v_mul_f16_e32 v49, 0x3722, v49
	v_mul_f16_e32 v43, 0xbb29, v43
	v_add_f16_e32 v22, v23, v22
	v_pk_mul_f16 v84, 0x3836bbb2, v69
	v_pack_b32_f16 v26, v56, v56
	v_pk_mul_f16 v75, 0xbbddbacd, v51 op_sel_hi:[1,0]
	v_mul_f16_e32 v51, 0xb8d2, v51
	v_add_f16_e32 v21, v22, v21
	v_mul_f16_e32 v22, 0xba62, v50
	v_mul_f16_e32 v50, 0xbbdd, v52
	;; [unrolled: 1-line block ×4, first 2 shown]
	v_add_f16_e32 v20, v21, v20
	v_mul_f16_e32 v21, 0x3bb2, v54
	v_mul_f16_e32 v54, 0x39e9, v59
	v_pk_mul_f16 v59, 0xb964b5c8, v62
	v_mul_f16_e32 v55, 0x3964, v57
	v_add_f16_e32 v18, v20, v18
	v_pk_mul_f16 v20, 0x39e93b76, v61
	v_mul_f16_e32 v57, 0x3b76, v60
	v_pk_mul_f16 v60, 0x2de839e9, v64
	v_pk_fma_f16 v86, 0x39e93b76, v61, v59
	v_add_f16_e32 v15, v15, v18
	v_sub_f16_e32 v85, v20, v59
	v_pk_mul_f16 v18, 0xb8d23722, v65
	v_bfi_b32 v20, 0xffff, v49, v20
	v_bfi_b32 v59, 0xffff, v43, v59
	v_add_f16_e32 v14, v14, v15
	v_add_f16_e32 v4, v4, v85
	v_pk_add_f16 v85, v63, v86
	v_pk_fma_f16 v86, 0xb8d23722, v65, v81
	v_pk_add_f16 v20, v20, v59 neg_lo:[0,1] neg_hi:[0,1]
	v_add_f16_e32 v11, v11, v14
	v_sub_f16_e32 v14, v60, v80
	v_bfi_b32 v59, 0xffff, v22, v80
	v_pk_mul_f16 v15, 0xbacdb461, v68
	v_pk_add_f16 v20, v63, v20
	v_add_f16_e32 v10, v10, v11
	v_sub_f16_e32 v11, v18, v81
	v_add_f16_e32 v4, v4, v14
	v_pk_add_f16 v14, v85, v87
	v_pk_fma_f16 v85, 0xbbdd2de8, v67, v83
	v_add_f16_e32 v6, v6, v10
	v_sub_f16_e32 v10, v82, v83
	v_add_f16_e32 v4, v4, v11
	v_pk_add_f16 v11, v14, v86
	v_bfi_b32 v18, 0xffff, v50, v18
	v_add_f16_e32 v14, v5, v6
	v_mul_f16_e32 v5, 0xb5c8, v56
	v_add_f16_e32 v4, v4, v10
	v_pk_add_f16 v10, v11, v85
	v_pk_fma_f16 v56, 0xbacdb461, v68, v84
	v_pack_b32_f16 v71, v58, v58
	v_pack_b32_f16 v72, v38, v38
	v_pk_mul_f16 v79, 0xb8d23b76, v58 op_sel_hi:[1,0]
	v_mul_f16_e32 v6, 0x2de8, v58
	v_pk_add_f16 v10, v10, v56
	v_bfi_b32 v56, 0xffff, v51, v60
	v_sub_f16_e32 v11, v15, v84
	v_pk_mul_f16 v58, 0xb461b8d2, v70
	v_pk_mul_f16 v85, 0x3bb2ba62, v26
	v_bfi_b32 v15, 0xffff, v54, v15
	v_pk_add_f16 v56, v56, v59 neg_lo:[0,1] neg_hi:[0,1]
	v_bfi_b32 v59, 0xffff, v52, v81
	v_mul_f16_e32 v38, 0xbbf7, v38
	v_pk_mul_f16 v80, 0x3722bacd, v71
	v_pk_mul_f16 v86, 0x3b29b836, v72
	v_pk_add_f16 v20, v20, v56
	v_pk_add_f16 v18, v18, v59 neg_lo:[0,1] neg_hi:[0,1]
	v_bfi_b32 v56, 0xffff, v53, v82
	v_bfi_b32 v59, 0xffff, v21, v83
	;; [unrolled: 1-line block ×4, first 2 shown]
	v_pk_add_f16 v18, v20, v18
	v_bfi_b32 v43, 0xffff, v38, v86
	v_pk_add_f16 v20, v56, v59 neg_lo:[0,1] neg_hi:[0,1]
	v_bfi_b32 v56, 0xffff, v55, v84
	v_pk_add_f16 v41, v49, v41
	v_bfi_b32 v49, 0xffff, v51, v75
	v_bfi_b32 v22, 0xffff, v22, v40
	v_pk_add_f16 v18, v18, v20
	v_pk_add_f16 v15, v15, v56 neg_lo:[0,1] neg_hi:[0,1]
	v_bfi_b32 v20, 0xffff, v57, v58
	v_bfi_b32 v56, 0xffff, v5, v85
	v_pk_add_f16 v22, v49, v22
	v_bfi_b32 v40, 0xffff, v50, v76
	v_pk_add_f16 v15, v18, v15
	v_bfi_b32 v24, 0xffff, v53, v24
	v_pk_add_f16 v18, v20, v56 neg_lo:[0,1] neg_hi:[0,1]
	v_bfi_b32 v20, 0xffff, v6, v80
	v_bfi_b32 v21, 0xffff, v21, v39
	v_pk_mul_f16 v28, 0x3bb23836, v28
	v_add_f16_e32 v4, v4, v11
	v_pk_add_f16 v15, v18, v15
	v_pk_add_f16 v18, v20, v43 neg_lo:[0,1] neg_hi:[0,1]
	v_pk_add_f16 v20, v63, v41
	v_bfi_b32 v41, 0xffff, v52, v42
	v_pk_add_f16 v21, v24, v21
	v_pk_mul_f16 v24, 0xb5c83964, v66
	v_pk_add_f16 v15, v15, v18
	v_pk_mul_f16 v18, 0xba62bbb2, v62
	v_pk_add_f16 v20, v20, v22
	v_pk_add_f16 v22, v40, v41
	v_sub_f16_e32 v11, v58, v85
	v_bfi_b32 v34, 0xffff, v55, v34
	v_pk_fma_f16 v18, 0xb8d2b461, v61, v18
	v_pk_fma_f16 v60, 0xb461b8d2, v70, v85
	v_pk_add_f16 v20, v20, v22
	v_pk_fma_f16 v22, 0xb461bacd, v64, v28
	v_bfi_b32 v28, 0xffff, v54, v77
	v_pk_add_f16 v18, v63, v18
	v_add_f16_e32 v4, v11, v4
	v_pk_add_f16 v20, v20, v21
	v_pk_fma_f16 v21, 0x3b7639e9, v65, v24
	v_sub_f16_e32 v11, v80, v86
	v_pk_add_f16 v18, v18, v22
	v_pk_mul_f16 v22, 0xb836bb29, v27
	v_pk_add_f16 v24, v28, v34
	v_bfi_b32 v27, 0xffff, v57, v78
	v_bfi_b32 v5, 0xffff, v5, v33
	v_pk_add_f16 v18, v18, v21
	v_pk_fma_f16 v21, 0xbacd3722, v67, v22
	v_pk_mul_f16 v22, 0x3bf7b1e1, v69
	v_pack_b32_f16 v73, v37, v37
	v_pack_b32_f16 v25, v36, v36
	v_pk_add_f16 v10, v60, v10
	v_add_f16_e32 v4, v4, v11
	v_pk_fma_f16 v11, 0x3722bacd, v71, v86
	v_pk_add_f16 v20, v20, v24
	v_pk_add_f16 v5, v27, v5
	;; [unrolled: 1-line block ×3, first 2 shown]
	v_pk_fma_f16 v21, 0x2de8bbdd, v68, v22
	v_pk_mul_f16 v22, 0xb9643bf7, v26
	v_pk_mul_f16 v23, 0x39e9b8d2, v37 op_sel_hi:[1,0]
	v_pk_mul_f16 v60, 0x35c8b1e1, v25
	v_pk_add_f16 v10, v10, v11
	v_pk_mul_f16 v11, 0x3b76bbdd, v73
	v_mul_f16_e32 v37, 0xbacd, v37
	v_mul_f16_e32 v36, 0xb836, v36
	v_bfi_b32 v6, 0xffff, v6, v79
	v_bfi_b32 v24, 0xffff, v38, v32
	v_pk_add_f16 v5, v5, v20
	v_pk_add_f16 v18, v18, v21
	v_pk_fma_f16 v20, 0x39e92de8, v70, v22
	v_pk_mul_f16 v21, 0xb1e1b5c8, v72
	v_sub_f16_e32 v58, v11, v60
	v_bfi_b32 v11, 0xffff, v37, v11
	v_bfi_b32 v28, 0xffff, v36, v60
	v_pk_add_f16 v6, v6, v24
	v_bfi_b32 v22, 0xffff, v37, v23
	v_bfi_b32 v23, 0xffff, v36, v35
	v_pk_add_f16 v18, v20, v18
	v_pk_fma_f16 v20, 0xbbdd3b76, v71, v21
	v_pk_mul_f16 v21, 0x3b29ba62, v25
	v_pk_add_f16 v11, v11, v28 neg_lo:[0,1] neg_hi:[0,1]
	v_pk_fma_f16 v59, 0x3b76bbdd, v73, v60
	v_pk_add_f16 v5, v5, v6
	v_pk_add_f16 v6, v22, v23
	;; [unrolled: 1-line block ×3, first 2 shown]
	v_pk_fma_f16 v20, 0x3722b8d2, v73, v21
	v_add_f16_e32 v21, v58, v4
	v_pk_add_f16 v11, v11, v15
	v_pk_add_f16 v4, v59, v10
	v_lshl_add_u32 v10, v12, 5, v0
	v_pk_add_f16 v5, v6, v5
	v_pk_add_f16 v6, v20, v18
	v_alignbit_b32 v23, v21, v11, 16
	v_alignbit_b32 v22, v11, v29, 16
	v_perm_b32 v20, v31, v30, 0x5040100
	v_alignbit_b32 v21, v29, v30, 16
	ds_write_b16 v10, v14
	ds_write_b128 v10, v[4:7] offset:2
	ds_write_b128 v10, v[20:23] offset:18
.LBB0_19:
	s_or_b32 exec_lo, exec_lo, s4
	s_waitcnt lgkmcnt(0)
	s_barrier
	buffer_gl0_inv
	ds_read_u16 v4, v0
	ds_read_u16 v22, v0 offset:306
	ds_read_u16 v21, v0 offset:612
	;; [unrolled: 1-line block ×6, first 2 shown]
	v_lshrrev_b32_e32 v5, 16, v7
	s_and_saveexec_b32 s1, s0
	s_cbranch_execz .LBB0_21
; %bb.20:
	ds_read_u16 v30, v0 offset:850
	ds_read_u16 v29, v0 offset:1768
	ds_read_u16 v7, v0 offset:238
	ds_read_u16 v5, v0 offset:544
	ds_read_u16 v31, v0 offset:1156
	s_waitcnt lgkmcnt(4)
	ds_read_u16_d16_hi v30, v0 offset:1462
	s_waitcnt lgkmcnt(4)
	ds_read_u16_d16_hi v29, v0 offset:2074
.LBB0_21:
	s_or_b32 exec_lo, exec_lo, s1
	v_and_b32_e32 v15, 0xff, v12
	v_add_nc_u16 v18, v12, 0x77
	v_mov_b32_e32 v32, 6
	v_mov_b32_e32 v36, 0xee
	;; [unrolled: 1-line block ×3, first 2 shown]
	v_mul_lo_u16 v15, 0xf1, v15
	v_lshrrev_b32_e32 v43, 16, v3
	v_lshrrev_b32_e32 v55, 16, v16
	s_waitcnt lgkmcnt(1)
	v_lshrrev_b32_e32 v56, 16, v30
	s_waitcnt lgkmcnt(0)
	v_lshrrev_b32_e32 v58, 16, v29
	v_lshrrev_b16 v20, 12, v15
	v_lshrrev_b32_e32 v57, 16, v17
	v_mul_lo_u16 v15, v20, 17
	v_mul_u32_u24_sdwa v20, v20, v36 dst_sel:DWORD dst_unused:UNUSED_PAD src0_sel:WORD_0 src1_sel:DWORD
	v_sub_nc_u16 v33, v12, v15
	v_and_b32_e32 v15, 0xff, v18
	v_mul_u32_u24_sdwa v23, v33, v32 dst_sel:DWORD dst_unused:UNUSED_PAD src0_sel:BYTE_0 src1_sel:DWORD
	v_mul_lo_u16 v15, 0xf1, v15
	v_lshlrev_b32_e32 v27, 2, v23
	v_lshrrev_b16 v15, 12, v15
	global_load_dwordx4 v[23:26], v27, s[8:9]
	v_mul_lo_u16 v34, v15, 17
	global_load_dwordx2 v[27:28], v27, s[8:9] offset:16
	v_sub_nc_u16 v18, v18, v34
	v_mul_u32_u24_sdwa v32, v18, v32 dst_sel:DWORD dst_unused:UNUSED_PAD src0_sel:BYTE_0 src1_sel:DWORD
	v_lshlrev_b32_e32 v32, 2, v32
	s_clause 0x1
	global_load_dwordx4 v[49:52], v32, s[8:9]
	global_load_dwordx2 v[53:54], v32, s[8:9] offset:16
	v_lshlrev_b32_sdwa v32, v38, v33 dst_sel:DWORD dst_unused:UNUSED_PAD src0_sel:DWORD src1_sel:BYTE_0
	s_waitcnt vmcnt(0)
	s_barrier
	buffer_gl0_inv
	v_add3_u32 v20, 0, v20, v32
	v_mul_f16_sdwa v39, v22, v23 dst_sel:DWORD dst_unused:UNUSED_PAD src0_sel:DWORD src1_sel:WORD_1
	v_mul_f16_sdwa v33, v48, v23 dst_sel:DWORD dst_unused:UNUSED_PAD src0_sel:DWORD src1_sel:WORD_1
	;; [unrolled: 1-line block ×12, first 2 shown]
	v_fma_f16 v40, v48, v23, -v39
	v_fmac_f16_e32 v33, v22, v23
	v_fma_f16 v39, v47, v24, -v41
	v_fmac_f16_e32 v35, v11, v26
	v_fma_f16 v11, v44, v27, -v61
	v_fma_f16 v2, v2, v28, -v62
	v_fmac_f16_e32 v42, v6, v28
	v_fmac_f16_e32 v34, v21, v24
	v_mul_f16_sdwa v6, v5, v49 dst_sel:DWORD dst_unused:UNUSED_PAD src0_sel:DWORD src1_sel:WORD_1
	v_mul_f16_sdwa v22, v43, v49 dst_sel:DWORD dst_unused:UNUSED_PAD src0_sel:DWORD src1_sel:WORD_1
	v_fma_f16 v41, v46, v25, -v59
	v_fmac_f16_e32 v32, v14, v25
	v_fma_f16 v14, v45, v26, -v60
	v_fmac_f16_e32 v37, v10, v27
	v_mul_f16_sdwa v23, v19, v50 dst_sel:DWORD dst_unused:UNUSED_PAD src0_sel:DWORD src1_sel:WORD_1
	v_mul_f16_sdwa v21, v55, v51 dst_sel:DWORD dst_unused:UNUSED_PAD src0_sel:DWORD src1_sel:WORD_1
	;; [unrolled: 1-line block ×3, first 2 shown]
	v_fma_f16 v26, v43, v49, -v6
	v_fmac_f16_e32 v22, v5, v49
	v_add_f16_e32 v5, v40, v2
	v_add_f16_e32 v6, v39, v11
	v_mul_f16_sdwa v10, v30, v50 dst_sel:DWORD dst_unused:UNUSED_PAD src0_sel:DWORD src1_sel:WORD_1
	v_mul_f16_sdwa v27, v31, v51 dst_sel:DWORD dst_unused:UNUSED_PAD src0_sel:DWORD src1_sel:WORD_1
	;; [unrolled: 1-line block ×6, first 2 shown]
	v_fmac_f16_e32 v23, v30, v50
	v_fmac_f16_e32 v21, v31, v51
	v_fma_f16 v17, v17, v52, -v44
	v_add_f16_e32 v30, v41, v14
	v_sub_f16_e32 v31, v34, v37
	v_sub_f16_e32 v43, v35, v32
	v_add_f16_e32 v44, v6, v5
	v_fma_f16 v19, v19, v50, -v10
	v_sub_f16_e32 v10, v33, v42
	v_fma_f16 v16, v16, v53, -v45
	v_fmac_f16_e32 v25, v29, v53
	v_fma_f16 v29, v57, v54, -v46
	v_sub_f16_e32 v45, v6, v5
	v_sub_f16_e32 v5, v5, v30
	;; [unrolled: 1-line block ×3, first 2 shown]
	v_add_f16_e32 v46, v43, v31
	v_sub_f16_e32 v47, v43, v31
	v_add_f16_e32 v30, v30, v44
	v_sub_f16_e32 v31, v31, v10
	v_sub_f16_e32 v43, v10, v43
	v_add_f16_e32 v10, v46, v10
	v_mul_f16_e32 v5, 0x3a52, v5
	v_mul_f16_e32 v46, 0xb846, v47
	v_add_f16_e32 v1, v1, v30
	v_mul_f16_e32 v47, 0x3b00, v31
	v_mul_f16_e32 v44, 0x2b26, v6
	v_fmamk_f16 v6, v6, 0x2b26, v5
	v_fmamk_f16 v48, v43, 0x3574, v46
	;; [unrolled: 1-line block ×3, first 2 shown]
	v_fma_f16 v43, v43, 0xb574, -v47
	v_fma_f16 v5, v45, 0xb9e0, -v5
	;; [unrolled: 1-line block ×4, first 2 shown]
	v_mul_f16_sdwa v28, v57, v54 dst_sel:DWORD dst_unused:UNUSED_PAD src0_sel:DWORD src1_sel:WORD_1
	v_fmac_f16_e32 v48, 0x370e, v10
	v_add_f16_e32 v6, v6, v30
	v_fmac_f16_e32 v43, 0x370e, v10
	v_add_f16_e32 v5, v5, v30
	;; [unrolled: 2-line block ×3, first 2 shown]
	v_fma_f16 v27, v55, v51, -v27
	v_fmac_f16_e32 v24, v56, v52
	v_fmac_f16_e32 v28, v58, v54
	ds_write_b16 v20, v1
	v_add_f16_e32 v1, v48, v6
	v_add_f16_e32 v30, v43, v5
	v_sub_f16_e32 v44, v10, v31
	v_add_f16_e32 v10, v31, v10
	v_sub_f16_e32 v5, v5, v43
	v_sub_f16_e32 v6, v6, v48
	ds_write_b16 v20, v1 offset:34
	ds_write_b16 v20, v30 offset:68
	;; [unrolled: 1-line block ×6, first 2 shown]
	s_and_saveexec_b32 s1, s0
	s_cbranch_execz .LBB0_23
; %bb.22:
	v_add_f16_e32 v1, v26, v29
	v_add_f16_e32 v5, v19, v16
	;; [unrolled: 1-line block ×3, first 2 shown]
	v_sub_f16_e32 v30, v24, v21
	v_sub_f16_e32 v43, v23, v25
	v_sub_f16_e32 v10, v22, v28
	v_add_f16_e32 v31, v5, v1
	v_sub_f16_e32 v44, v1, v6
	v_sub_f16_e32 v45, v6, v5
	;; [unrolled: 1-line block ×4, first 2 shown]
	v_add_f16_e32 v6, v6, v31
	v_sub_f16_e32 v31, v30, v43
	v_add_f16_e32 v30, v30, v43
	v_sub_f16_e32 v43, v43, v10
	v_mul_f16_e32 v44, 0x3a52, v44
	v_add_f16_e32 v3, v3, v6
	v_mul_f16_e32 v31, 0xb846, v31
	v_add_f16_e32 v10, v30, v10
	v_mul_f16_e32 v5, 0x3b00, v43
	v_fmamk_f16 v47, v45, 0x2b26, v44
	v_fma_f16 v30, v1, 0xb9e0, -v44
	v_mul_f16_e32 v44, 0x2b26, v45
	v_fmamk_f16 v6, v6, 0xbcab, v3
	v_fmamk_f16 v48, v46, 0x3574, v31
	v_fma_f16 v5, v46, 0xb574, -v5
	v_fma_f16 v31, v43, 0x3b00, -v31
	;; [unrolled: 1-line block ×3, first 2 shown]
	v_mul_u32_u24_sdwa v36, v15, v36 dst_sel:DWORD dst_unused:UNUSED_PAD src0_sel:WORD_0 src1_sel:DWORD
	v_lshlrev_b32_sdwa v38, v38, v18 dst_sel:DWORD dst_unused:UNUSED_PAD src0_sel:DWORD src1_sel:BYTE_0
	v_add_f16_e32 v45, v47, v6
	v_fmac_f16_e32 v48, 0x370e, v10
	v_add_f16_e32 v30, v30, v6
	v_fmac_f16_e32 v5, 0x370e, v10
	v_fmac_f16_e32 v31, 0x370e, v10
	v_add_f16_e32 v1, v1, v6
	v_add3_u32 v10, 0, v36, v38
	v_add_f16_e32 v36, v48, v45
	v_sub_f16_e32 v6, v30, v5
	v_add_f16_e32 v5, v5, v30
	v_sub_f16_e32 v30, v1, v31
	;; [unrolled: 2-line block ×3, first 2 shown]
	ds_write_b16 v10, v3
	ds_write_b16 v10, v36 offset:34
	ds_write_b16 v10, v5 offset:68
	;; [unrolled: 1-line block ×6, first 2 shown]
.LBB0_23:
	s_or_b32 exec_lo, exec_lo, s1
	v_add_f16_e32 v1, v33, v42
	v_add_f16_e32 v3, v34, v37
	v_add_f16_e32 v5, v32, v35
	v_sub_f16_e32 v6, v39, v11
	v_sub_f16_e32 v10, v14, v41
	;; [unrolled: 1-line block ×3, first 2 shown]
	v_add_f16_e32 v11, v3, v1
	v_sub_f16_e32 v14, v3, v1
	v_sub_f16_e32 v1, v1, v5
	;; [unrolled: 1-line block ×3, first 2 shown]
	v_add_f16_e32 v30, v10, v6
	v_add_f16_e32 v5, v5, v11
	v_sub_f16_e32 v11, v10, v6
	v_sub_f16_e32 v10, v2, v10
	;; [unrolled: 1-line block ×3, first 2 shown]
	v_add_f16_e32 v30, v30, v2
	v_add_f16_e32 v31, v4, v5
	v_mul_f16_e32 v1, 0x3a52, v1
	v_mul_f16_e32 v2, 0x2b26, v3
	;; [unrolled: 1-line block ×4, first 2 shown]
	v_fmamk_f16 v5, v5, 0xbcab, v31
	v_fmamk_f16 v3, v3, 0x2b26, v1
	v_fma_f16 v2, v14, 0x39e0, -v2
	v_fma_f16 v1, v14, 0xb9e0, -v1
	v_fmamk_f16 v32, v10, 0x3574, v4
	v_fma_f16 v33, v6, 0x3b00, -v4
	v_fma_f16 v34, v10, 0xb574, -v11
	v_add_f16_e32 v35, v3, v5
	v_add_f16_e32 v36, v2, v5
	;; [unrolled: 1-line block ×3, first 2 shown]
	s_waitcnt lgkmcnt(0)
	s_barrier
	buffer_gl0_inv
	ds_read_u16 v1, v0
	ds_read_u16 v2, v0 offset:238
	ds_read_u16 v4, v0 offset:476
	;; [unrolled: 1-line block ×8, first 2 shown]
	v_fmac_f16_e32 v32, 0x370e, v30
	v_fmac_f16_e32 v34, 0x370e, v30
	;; [unrolled: 1-line block ×3, first 2 shown]
	s_waitcnt lgkmcnt(0)
	s_barrier
	v_sub_f16_e32 v30, v35, v32
	v_sub_f16_e32 v38, v37, v34
	v_add_f16_e32 v39, v33, v36
	v_sub_f16_e32 v33, v36, v33
	v_add_f16_e32 v34, v34, v37
	v_add_f16_e32 v32, v32, v35
	buffer_gl0_inv
	ds_write_b16 v20, v31
	ds_write_b16 v20, v30 offset:34
	ds_write_b16 v20, v38 offset:68
	;; [unrolled: 1-line block ×6, first 2 shown]
	s_and_saveexec_b32 s1, s0
	s_cbranch_execz .LBB0_25
; %bb.24:
	v_add_f16_e32 v20, v22, v28
	v_add_f16_e32 v22, v23, v25
	;; [unrolled: 1-line block ×3, first 2 shown]
	v_sub_f16_e32 v16, v19, v16
	v_sub_f16_e32 v17, v17, v27
	;; [unrolled: 1-line block ×3, first 2 shown]
	v_add_f16_e32 v19, v22, v20
	v_sub_f16_e32 v24, v22, v20
	v_sub_f16_e32 v20, v20, v21
	;; [unrolled: 1-line block ×3, first 2 shown]
	v_add_f16_e32 v25, v17, v16
	v_add_f16_e32 v19, v21, v19
	v_sub_f16_e32 v21, v17, v16
	v_sub_f16_e32 v17, v23, v17
	;; [unrolled: 1-line block ×3, first 2 shown]
	v_add_f16_e32 v23, v25, v23
	v_add_f16_e32 v7, v7, v19
	v_mul_f16_e32 v20, 0x3a52, v20
	v_mul_f16_e32 v25, 0x2b26, v22
	;; [unrolled: 1-line block ×4, first 2 shown]
	v_fmamk_f16 v19, v19, 0xbcab, v7
	v_fmamk_f16 v22, v22, 0x2b26, v20
	v_fma_f16 v25, v24, 0x39e0, -v25
	v_fma_f16 v20, v24, 0xb9e0, -v20
	v_fmamk_f16 v24, v17, 0x3574, v21
	v_fma_f16 v16, v16, 0x3b00, -v21
	v_fma_f16 v17, v17, 0xb574, -v26
	v_add_f16_e32 v21, v22, v19
	v_add_f16_e32 v22, v25, v19
	v_mov_b32_e32 v25, 0xee
	v_mov_b32_e32 v26, 1
	v_fmac_f16_e32 v24, 0x370e, v23
	v_add_f16_e32 v19, v20, v19
	v_fmac_f16_e32 v17, 0x370e, v23
	v_mul_u32_u24_sdwa v15, v15, v25 dst_sel:DWORD dst_unused:UNUSED_PAD src0_sel:WORD_0 src1_sel:DWORD
	v_lshlrev_b32_sdwa v18, v26, v18 dst_sel:DWORD dst_unused:UNUSED_PAD src0_sel:DWORD src1_sel:BYTE_0
	v_fmac_f16_e32 v16, 0x370e, v23
	v_sub_f16_e32 v20, v21, v24
	v_sub_f16_e32 v23, v19, v17
	v_add_f16_e32 v17, v17, v19
	v_add3_u32 v15, 0, v15, v18
	v_add_f16_e32 v18, v16, v22
	v_sub_f16_e32 v16, v22, v16
	v_add_f16_e32 v19, v24, v21
	ds_write_b16 v15, v7
	ds_write_b16 v15, v20 offset:34
	ds_write_b16 v15, v23 offset:68
	;; [unrolled: 1-line block ×6, first 2 shown]
.LBB0_25:
	s_or_b32 exec_lo, exec_lo, s1
	s_waitcnt lgkmcnt(0)
	s_barrier
	buffer_gl0_inv
	s_and_saveexec_b32 s0, vcc_lo
	s_cbranch_execz .LBB0_27
; %bb.26:
	v_lshlrev_b32_e32 v15, 3, v12
	v_mov_b32_e32 v16, 0
	v_mad_u64_u32 v[23:24], null, s2, v13, 0
	v_add_nc_u32_e32 v41, 0x77, v13
	v_add_nc_u32_e32 v42, 0xee, v13
	v_lshlrev_b64 v[15:16], 2, v[15:16]
	v_add_nc_u32_e32 v43, 0x165, v13
	v_add_nc_u32_e32 v44, 0x1dc, v13
	;; [unrolled: 1-line block ×3, first 2 shown]
	v_lshlrev_b64 v[7:8], 2, v[8:9]
	v_add_nc_u32_e32 v46, 0x2ca, v13
	v_add_co_u32 v19, vcc_lo, s8, v15
	v_add_co_ci_u32_e32 v20, vcc_lo, s9, v16, vcc_lo
	v_add_nc_u32_e32 v57, 0x3b8, v13
	v_mad_u64_u32 v[25:26], null, s2, v41, 0
	s_clause 0x1
	global_load_dwordx4 v[15:18], v[19:20], off offset:408
	global_load_dwordx4 v[19:22], v[19:20], off offset:424
	ds_read_u16 v47, v0 offset:1904
	ds_read_u16 v48, v0 offset:1666
	;; [unrolled: 1-line block ×8, first 2 shown]
	ds_read_u16 v55, v0
	v_add_nc_u32_e32 v56, 0x341, v13
	v_mad_u64_u32 v[27:28], null, s2, v42, 0
	v_mad_u64_u32 v[29:30], null, s2, v43, 0
	v_mov_b32_e32 v0, v24
	v_mad_u64_u32 v[31:32], null, s2, v44, 0
	v_mad_u64_u32 v[33:34], null, s2, v45, 0
	;; [unrolled: 1-line block ×4, first 2 shown]
	v_add_co_u32 v58, vcc_lo, s12, v7
	v_mad_u64_u32 v[37:38], null, s2, v56, 0
	v_add_co_ci_u32_e32 v59, vcc_lo, s13, v8, vcc_lo
	v_mad_u64_u32 v[7:8], null, s3, v13, v[0:1]
	v_mov_b32_e32 v0, v26
	v_mov_b32_e32 v8, v28
	;; [unrolled: 1-line block ×7, first 2 shown]
	v_mad_u64_u32 v[40:41], null, s3, v41, v[0:1]
	v_mov_b32_e32 v26, v38
	v_mad_u64_u32 v[41:42], null, s3, v42, v[8:9]
	v_mad_u64_u32 v[8:9], null, s3, v43, v[9:10]
	;; [unrolled: 1-line block ×4, first 2 shown]
	v_mov_b32_e32 v24, v7
	v_mad_u64_u32 v[12:13], null, s3, v45, v[13:14]
	v_mad_u64_u32 v[44:45], null, s3, v56, v[26:27]
	v_mov_b32_e32 v26, v40
	v_lshlrev_b64 v[23:24], 2, v[23:24]
	v_mad_u64_u32 v[45:46], null, s3, v57, v[28:29]
	v_mov_b32_e32 v28, v41
	v_mov_b32_e32 v30, v8
	v_lshlrev_b64 v[7:8], 2, v[25:26]
	v_mov_b32_e32 v34, v12
	v_add_co_u32 v23, vcc_lo, v58, v23
	v_lshlrev_b64 v[12:13], 2, v[27:28]
	v_mov_b32_e32 v32, v42
	v_add_co_ci_u32_e32 v24, vcc_lo, v59, v24, vcc_lo
	v_lshlrev_b64 v[25:26], 2, v[29:30]
	v_add_co_u32 v7, vcc_lo, v58, v7
	v_add_co_ci_u32_e32 v8, vcc_lo, v59, v8, vcc_lo
	v_lshlrev_b64 v[27:28], 2, v[31:32]
	v_add_co_u32 v12, vcc_lo, v58, v12
	v_mov_b32_e32 v36, v43
	v_add_co_ci_u32_e32 v13, vcc_lo, v59, v13, vcc_lo
	v_lshlrev_b64 v[29:30], 2, v[33:34]
	v_add_co_u32 v25, vcc_lo, v58, v25
	v_mov_b32_e32 v38, v44
	;; [unrolled: 4-line block ×3, first 2 shown]
	v_add_co_ci_u32_e32 v28, vcc_lo, v59, v28, vcc_lo
	v_lshlrev_b64 v[33:34], 2, v[37:38]
	v_add_co_u32 v29, vcc_lo, v58, v29
	v_add_co_ci_u32_e32 v30, vcc_lo, v59, v30, vcc_lo
	v_lshlrev_b64 v[35:36], 2, v[39:40]
	v_add_co_u32 v31, vcc_lo, v58, v31
	v_add_co_ci_u32_e32 v32, vcc_lo, v59, v32, vcc_lo
	v_add_co_u32 v33, vcc_lo, v58, v33
	v_add_co_ci_u32_e32 v34, vcc_lo, v59, v34, vcc_lo
	;; [unrolled: 2-line block ×3, first 2 shown]
	s_waitcnt vmcnt(1)
	v_mul_f16_sdwa v0, v2, v15 dst_sel:DWORD dst_unused:UNUSED_PAD src0_sel:DWORD src1_sel:WORD_1
	s_waitcnt vmcnt(0)
	v_mul_f16_sdwa v9, v6, v22 dst_sel:DWORD dst_unused:UNUSED_PAD src0_sel:DWORD src1_sel:WORD_1
	v_mul_f16_sdwa v39, v4, v16 dst_sel:DWORD dst_unused:UNUSED_PAD src0_sel:DWORD src1_sel:WORD_1
	;; [unrolled: 1-line block ×3, first 2 shown]
	s_waitcnt lgkmcnt(4)
	v_mul_f16_sdwa v43, v51, v19 dst_sel:DWORD dst_unused:UNUSED_PAD src0_sel:DWORD src1_sel:WORD_1
	v_mul_f16_sdwa v44, v49, v18 dst_sel:DWORD dst_unused:UNUSED_PAD src0_sel:DWORD src1_sel:WORD_1
	;; [unrolled: 1-line block ×3, first 2 shown]
	s_waitcnt lgkmcnt(2)
	v_mul_f16_sdwa v46, v53, v16 dst_sel:DWORD dst_unused:UNUSED_PAD src0_sel:DWORD src1_sel:WORD_1
	v_mul_f16_sdwa v56, v50, v20 dst_sel:DWORD dst_unused:UNUSED_PAD src0_sel:DWORD src1_sel:WORD_1
	v_mul_f16_sdwa v57, v52, v17 dst_sel:DWORD dst_unused:UNUSED_PAD src0_sel:DWORD src1_sel:WORD_1
	v_mul_f16_sdwa v58, v47, v22 dst_sel:DWORD dst_unused:UNUSED_PAD src0_sel:DWORD src1_sel:WORD_1
	s_waitcnt lgkmcnt(1)
	v_mul_f16_sdwa v59, v54, v15 dst_sel:DWORD dst_unused:UNUSED_PAD src0_sel:DWORD src1_sel:WORD_1
	v_mul_f16_sdwa v37, v3, v17 dst_sel:DWORD dst_unused:UNUSED_PAD src0_sel:DWORD src1_sel:WORD_1
	;; [unrolled: 1-line block ×5, first 2 shown]
	v_fmac_f16_e32 v0, v54, v15
	v_fmac_f16_e32 v9, v47, v22
	;; [unrolled: 1-line block ×4, first 2 shown]
	v_fma_f16 v11, v11, v19, -v43
	v_fma_f16 v10, v10, v18, -v44
	;; [unrolled: 1-line block ×8, first 2 shown]
	v_fmac_f16_e32 v37, v52, v17
	v_fmac_f16_e32 v38, v50, v20
	v_sub_f16_e32 v15, v0, v9
	v_add_f16_e32 v20, v4, v14
	v_add_f16_e32 v21, v3, v5
	;; [unrolled: 1-line block ×3, first 2 shown]
	v_sub_f16_e32 v2, v2, v6
	v_sub_f16_e32 v3, v3, v5
	;; [unrolled: 1-line block ×3, first 2 shown]
	v_add_f16_e32 v6, v39, v40
	v_add_f16_e32 v0, v0, v9
	v_sub_f16_e32 v16, v37, v38
	v_sub_f16_e32 v17, v39, v40
	;; [unrolled: 1-line block ×3, first 2 shown]
	v_add_f16_e32 v37, v37, v38
	v_mul_f16_e32 v39, 0x3be1, v5
	v_add_f16_e32 v43, v0, v6
	v_add_f16_e32 v44, v22, v20
	v_fmac_f16_e32 v41, v49, v18
	v_fmac_f16_e32 v42, v51, v19
	v_mul_f16_e32 v52, 0xb924, v5
	v_mul_f16_e32 v54, 0x3be1, v4
	v_fma_f16 v39, v4, 0xb924, -v39
	v_add_f16_e32 v56, v37, v43
	v_add_f16_e32 v57, v21, v44
	v_sub_f16_e32 v18, v41, v42
	v_add_f16_e32 v19, v10, v11
	v_add_f16_e32 v14, v41, v42
	v_fmac_f16_e32 v52, 0x3be1, v2
	v_fmac_f16_e32 v54, 0x3924, v2
	;; [unrolled: 1-line block ×3, first 2 shown]
	v_add_f16_e32 v41, v56, v41
	v_add_f16_e32 v10, v57, v10
	;; [unrolled: 1-line block ×3, first 2 shown]
	v_fmac_f16_e32 v52, 0xbaee, v3
	v_fmac_f16_e32 v54, 0x3aee, v3
	v_fmac_f16_e32 v39, 0x3579, v2
	v_add_f16_e32 v2, v41, v42
	v_add_f16_e32 v3, v10, v11
	v_mul_f16_e32 v9, 0x3be1, v18
	v_fmamk_f16 v38, v20, 0x3a21, v1
	s_waitcnt lgkmcnt(0)
	v_fmamk_f16 v40, v6, 0x3a21, v55
	v_mul_f16_e32 v49, 0xb924, v18
	v_fmamk_f16 v50, v19, 0x3a21, v1
	v_fmamk_f16 v51, v14, 0x3a21, v55
	v_add_f16_e32 v46, v1, v21
	v_add_f16_e32 v47, v37, v55
	v_mul_f16_e32 v53, 0x3be1, v17
	v_add_f16_e32 v2, v55, v2
	v_add_f16_e32 v3, v1, v3
	v_fmac_f16_e32 v1, 0x3a21, v22
	v_fmac_f16_e32 v55, 0x3a21, v0
	v_fma_f16 v9, v17, 0xb924, -v9
	v_fmac_f16_e32 v38, 0x318f, v19
	v_fmac_f16_e32 v40, 0x318f, v14
	;; [unrolled: 1-line block ×8, first 2 shown]
	v_add_f16_e32 v45, v15, v18
	v_add_f16_e32 v44, v44, v19
	;; [unrolled: 1-line block ×3, first 2 shown]
	v_fmac_f16_e32 v9, 0x3aee, v16
	v_fmac_f16_e32 v38, -0.5, v21
	v_fmac_f16_e32 v40, -0.5, v37
	v_fmac_f16_e32 v49, 0xbaee, v16
	v_fmac_f16_e32 v50, -0.5, v21
	v_fmac_f16_e32 v51, -0.5, v37
	;; [unrolled: 3-line block ×3, first 2 shown]
	v_sub_f16_e32 v45, v45, v17
	v_sub_f16_e32 v48, v48, v4
	v_fmac_f16_e32 v46, -0.5, v44
	v_fmac_f16_e32 v47, -0.5, v43
	v_fmac_f16_e32 v9, 0x3579, v15
	v_fmac_f16_e32 v38, 0xbb84, v22
	;; [unrolled: 1-line block ×11, first 2 shown]
	v_mul_f16_e32 v56, 0x3aee, v45
	v_mul_f16_e32 v43, 0x3aee, v48
	v_fmac_f16_e32 v46, 0x3aee, v45
	v_fmac_f16_e32 v47, 0xbaee, v48
	v_add_f16_e32 v0, v9, v38
	v_sub_f16_e32 v4, v40, v39
	v_add_f16_e32 v10, v49, v50
	v_sub_f16_e32 v11, v51, v52
	v_pack_b32_f16 v2, v3, v2
	v_add_f16_e32 v1, v53, v1
	v_sub_f16_e32 v3, v55, v54
	v_fma_f16 v5, -2.0, v56, v46
	v_fma_f16 v6, 2.0, v43, v47
	v_fma_f16 v9, -2.0, v9, v0
	v_fma_f16 v16, 2.0, v39, v4
	;; [unrolled: 2-line block ×3, first 2 shown]
	global_store_dword v[23:24], v2, off
	v_pack_b32_f16 v2, v1, v3
	v_fma_f16 v1, -2.0, v53, v1
	v_fma_f16 v3, 2.0, v54, v3
	v_pack_b32_f16 v0, v0, v4
	v_pack_b32_f16 v10, v10, v11
	v_pack_b32_f16 v4, v5, v6
	v_pack_b32_f16 v5, v9, v16
	v_pack_b32_f16 v15, v46, v47
	v_pack_b32_f16 v6, v14, v17
	v_pack_b32_f16 v1, v1, v3
	global_store_dword v[7:8], v2, off
	global_store_dword v[12:13], v10, off
	global_store_dword v[25:26], v15, off
	global_store_dword v[27:28], v0, off
	global_store_dword v[29:30], v5, off
	global_store_dword v[31:32], v4, off
	global_store_dword v[33:34], v6, off
	global_store_dword v[35:36], v1, off
.LBB0_27:
	s_endpgm
	.section	.rodata,"a",@progbits
	.p2align	6, 0x0
	.amdhsa_kernel fft_rtc_fwd_len1071_factors_17_7_9_wgs_119_tpt_119_halfLds_half_ip_CI_sbrr_dirReg
		.amdhsa_group_segment_fixed_size 0
		.amdhsa_private_segment_fixed_size 0
		.amdhsa_kernarg_size 88
		.amdhsa_user_sgpr_count 6
		.amdhsa_user_sgpr_private_segment_buffer 1
		.amdhsa_user_sgpr_dispatch_ptr 0
		.amdhsa_user_sgpr_queue_ptr 0
		.amdhsa_user_sgpr_kernarg_segment_ptr 1
		.amdhsa_user_sgpr_dispatch_id 0
		.amdhsa_user_sgpr_flat_scratch_init 0
		.amdhsa_user_sgpr_private_segment_size 0
		.amdhsa_wavefront_size32 1
		.amdhsa_uses_dynamic_stack 0
		.amdhsa_system_sgpr_private_segment_wavefront_offset 0
		.amdhsa_system_sgpr_workgroup_id_x 1
		.amdhsa_system_sgpr_workgroup_id_y 0
		.amdhsa_system_sgpr_workgroup_id_z 0
		.amdhsa_system_sgpr_workgroup_info 0
		.amdhsa_system_vgpr_workitem_id 0
		.amdhsa_next_free_vgpr 112
		.amdhsa_next_free_sgpr 23
		.amdhsa_reserve_vcc 1
		.amdhsa_reserve_flat_scratch 0
		.amdhsa_float_round_mode_32 0
		.amdhsa_float_round_mode_16_64 0
		.amdhsa_float_denorm_mode_32 3
		.amdhsa_float_denorm_mode_16_64 3
		.amdhsa_dx10_clamp 1
		.amdhsa_ieee_mode 1
		.amdhsa_fp16_overflow 0
		.amdhsa_workgroup_processor_mode 1
		.amdhsa_memory_ordered 1
		.amdhsa_forward_progress 0
		.amdhsa_shared_vgpr_count 0
		.amdhsa_exception_fp_ieee_invalid_op 0
		.amdhsa_exception_fp_denorm_src 0
		.amdhsa_exception_fp_ieee_div_zero 0
		.amdhsa_exception_fp_ieee_overflow 0
		.amdhsa_exception_fp_ieee_underflow 0
		.amdhsa_exception_fp_ieee_inexact 0
		.amdhsa_exception_int_div_zero 0
	.end_amdhsa_kernel
	.text
.Lfunc_end0:
	.size	fft_rtc_fwd_len1071_factors_17_7_9_wgs_119_tpt_119_halfLds_half_ip_CI_sbrr_dirReg, .Lfunc_end0-fft_rtc_fwd_len1071_factors_17_7_9_wgs_119_tpt_119_halfLds_half_ip_CI_sbrr_dirReg
                                        ; -- End function
	.section	.AMDGPU.csdata,"",@progbits
; Kernel info:
; codeLenInByte = 12356
; NumSgprs: 25
; NumVgprs: 112
; ScratchSize: 0
; MemoryBound: 0
; FloatMode: 240
; IeeeMode: 1
; LDSByteSize: 0 bytes/workgroup (compile time only)
; SGPRBlocks: 3
; VGPRBlocks: 13
; NumSGPRsForWavesPerEU: 25
; NumVGPRsForWavesPerEU: 112
; Occupancy: 9
; WaveLimiterHint : 1
; COMPUTE_PGM_RSRC2:SCRATCH_EN: 0
; COMPUTE_PGM_RSRC2:USER_SGPR: 6
; COMPUTE_PGM_RSRC2:TRAP_HANDLER: 0
; COMPUTE_PGM_RSRC2:TGID_X_EN: 1
; COMPUTE_PGM_RSRC2:TGID_Y_EN: 0
; COMPUTE_PGM_RSRC2:TGID_Z_EN: 0
; COMPUTE_PGM_RSRC2:TIDIG_COMP_CNT: 0
	.text
	.p2alignl 6, 3214868480
	.fill 48, 4, 3214868480
	.type	__hip_cuid_f335cff00f93895,@object ; @__hip_cuid_f335cff00f93895
	.section	.bss,"aw",@nobits
	.globl	__hip_cuid_f335cff00f93895
__hip_cuid_f335cff00f93895:
	.byte	0                               ; 0x0
	.size	__hip_cuid_f335cff00f93895, 1

	.ident	"AMD clang version 19.0.0git (https://github.com/RadeonOpenCompute/llvm-project roc-6.4.0 25133 c7fe45cf4b819c5991fe208aaa96edf142730f1d)"
	.section	".note.GNU-stack","",@progbits
	.addrsig
	.addrsig_sym __hip_cuid_f335cff00f93895
	.amdgpu_metadata
---
amdhsa.kernels:
  - .args:
      - .actual_access:  read_only
        .address_space:  global
        .offset:         0
        .size:           8
        .value_kind:     global_buffer
      - .offset:         8
        .size:           8
        .value_kind:     by_value
      - .actual_access:  read_only
        .address_space:  global
        .offset:         16
        .size:           8
        .value_kind:     global_buffer
      - .actual_access:  read_only
        .address_space:  global
        .offset:         24
        .size:           8
        .value_kind:     global_buffer
      - .offset:         32
        .size:           8
        .value_kind:     by_value
      - .actual_access:  read_only
        .address_space:  global
        .offset:         40
        .size:           8
        .value_kind:     global_buffer
      - .actual_access:  read_only
        .address_space:  global
        .offset:         48
        .size:           8
        .value_kind:     global_buffer
      - .offset:         56
        .size:           4
        .value_kind:     by_value
      - .actual_access:  read_only
        .address_space:  global
        .offset:         64
        .size:           8
        .value_kind:     global_buffer
      - .actual_access:  read_only
        .address_space:  global
        .offset:         72
        .size:           8
        .value_kind:     global_buffer
      - .address_space:  global
        .offset:         80
        .size:           8
        .value_kind:     global_buffer
    .group_segment_fixed_size: 0
    .kernarg_segment_align: 8
    .kernarg_segment_size: 88
    .language:       OpenCL C
    .language_version:
      - 2
      - 0
    .max_flat_workgroup_size: 119
    .name:           fft_rtc_fwd_len1071_factors_17_7_9_wgs_119_tpt_119_halfLds_half_ip_CI_sbrr_dirReg
    .private_segment_fixed_size: 0
    .sgpr_count:     25
    .sgpr_spill_count: 0
    .symbol:         fft_rtc_fwd_len1071_factors_17_7_9_wgs_119_tpt_119_halfLds_half_ip_CI_sbrr_dirReg.kd
    .uniform_work_group_size: 1
    .uses_dynamic_stack: false
    .vgpr_count:     112
    .vgpr_spill_count: 0
    .wavefront_size: 32
    .workgroup_processor_mode: 1
amdhsa.target:   amdgcn-amd-amdhsa--gfx1030
amdhsa.version:
  - 1
  - 2
...

	.end_amdgpu_metadata
